;; amdgpu-corpus repo=ROCm/rocFFT kind=compiled arch=gfx1201 opt=O3
	.text
	.amdgcn_target "amdgcn-amd-amdhsa--gfx1201"
	.amdhsa_code_object_version 6
	.protected	bluestein_single_fwd_len520_dim1_half_op_CI_CI ; -- Begin function bluestein_single_fwd_len520_dim1_half_op_CI_CI
	.globl	bluestein_single_fwd_len520_dim1_half_op_CI_CI
	.p2align	8
	.type	bluestein_single_fwd_len520_dim1_half_op_CI_CI,@function
bluestein_single_fwd_len520_dim1_half_op_CI_CI: ; @bluestein_single_fwd_len520_dim1_half_op_CI_CI
; %bb.0:
	s_load_b128 s[4:7], s[0:1], 0x28
	v_mul_u32_u24_e32 v1, 0x4ed, v0
	s_mov_b32 s2, exec_lo
	v_mov_b32_e32 v18, 0
	s_delay_alu instid0(VALU_DEP_2) | instskip(NEXT) | instid1(VALU_DEP_1)
	v_lshrrev_b32_e32 v1, 16, v1
	v_add_nc_u32_e32 v17, ttmp9, v1
	s_wait_kmcnt 0x0
	s_delay_alu instid0(VALU_DEP_1)
	v_cmpx_gt_u64_e64 s[4:5], v[17:18]
	s_cbranch_execz .LBB0_23
; %bb.1:
	v_mul_lo_u16 v1, v1, 52
	s_clause 0x1
	s_load_b64 s[24:25], s[0:1], 0x0
	s_load_b64 s[4:5], s[0:1], 0x38
	s_delay_alu instid0(VALU_DEP_1) | instskip(NEXT) | instid1(VALU_DEP_1)
	v_sub_nc_u16 v0, v0, v1
	v_and_b32_e32 v34, 0xffff, v0
	v_cmp_gt_u16_e32 vcc_lo, 40, v0
	s_delay_alu instid0(VALU_DEP_2)
	v_lshlrev_b32_e32 v33, 2, v34
	v_or_b32_e32 v32, 0x140, v34
	s_and_saveexec_b32 s3, vcc_lo
	s_cbranch_execz .LBB0_3
; %bb.2:
	s_load_b64 s[8:9], s[0:1], 0x18
	s_wait_kmcnt 0x0
	s_load_b128 s[8:11], s[8:9], 0x0
	s_clause 0xc
	global_load_b32 v10, v33, s[24:25]
	global_load_b32 v11, v33, s[24:25] offset:160
	global_load_b32 v12, v33, s[24:25] offset:320
	;; [unrolled: 1-line block ×12, first 2 shown]
	s_wait_kmcnt 0x0
	v_mad_co_u64_u32 v[0:1], null, s10, v17, 0
	v_mad_co_u64_u32 v[2:3], null, s8, v34, 0
	;; [unrolled: 1-line block ×3, first 2 shown]
	s_delay_alu instid0(VALU_DEP_2) | instskip(NEXT) | instid1(VALU_DEP_3)
	v_mad_co_u64_u32 v[6:7], null, s11, v17, v[1:2]
	v_mov_b32_e32 v1, v3
	s_delay_alu instid0(VALU_DEP_3) | instskip(SKIP_1) | instid1(VALU_DEP_2)
	v_mov_b32_e32 v3, v5
	s_mul_u64 s[10:11], s[8:9], 0xa0
	v_mad_co_u64_u32 v[7:8], null, s9, v34, v[1:2]
	s_delay_alu instid0(VALU_DEP_4) | instskip(NEXT) | instid1(VALU_DEP_3)
	v_mov_b32_e32 v1, v6
	v_mad_co_u64_u32 v[5:6], null, s9, v32, v[3:4]
	s_delay_alu instid0(VALU_DEP_2) | instskip(NEXT) | instid1(VALU_DEP_4)
	v_lshlrev_b64_e32 v[0:1], 2, v[0:1]
	v_mov_b32_e32 v3, v7
	s_delay_alu instid0(VALU_DEP_1) | instskip(NEXT) | instid1(VALU_DEP_3)
	v_lshlrev_b64_e32 v[2:3], 2, v[2:3]
	v_add_co_u32 v6, s2, s6, v0
	s_delay_alu instid0(VALU_DEP_1) | instskip(NEXT) | instid1(VALU_DEP_2)
	v_add_co_ci_u32_e64 v7, s2, s7, v1, s2
	v_add_co_u32 v0, s2, v6, v2
	s_wait_alu 0xf1ff
	s_delay_alu instid0(VALU_DEP_2)
	v_add_co_ci_u32_e64 v1, s2, v7, v3, s2
	v_lshlrev_b64_e32 v[2:3], 2, v[4:5]
	s_wait_alu 0xfffe
	v_add_co_u32 v4, s2, v0, s10
	s_wait_alu 0xf1ff
	v_add_co_ci_u32_e64 v5, s2, s11, v1, s2
	global_load_b32 v24, v[0:1], off
	v_add_co_u32 v2, s2, v6, v2
	s_wait_alu 0xf1ff
	v_add_co_ci_u32_e64 v3, s2, v7, v3, s2
	v_add_co_u32 v6, s2, v4, s10
	s_wait_alu 0xf1ff
	v_add_co_ci_u32_e64 v7, s2, s11, v5, s2
	s_clause 0x2
	global_load_b32 v25, v[2:3], off
	global_load_b32 v26, v[4:5], off
	;; [unrolled: 1-line block ×3, first 2 shown]
	v_add_co_u32 v0, s2, v6, s10
	s_wait_alu 0xf1ff
	v_add_co_ci_u32_e64 v1, s2, s11, v7, s2
	s_delay_alu instid0(VALU_DEP_2)
	v_add_co_u32 v2, s2, v0, s10
	global_load_b32 v28, v[0:1], off
	s_wait_alu 0xf1ff
	v_add_co_ci_u32_e64 v3, s2, s11, v1, s2
	v_add_co_u32 v4, s2, v2, s10
	s_wait_alu 0xf1ff
	s_delay_alu instid0(VALU_DEP_2) | instskip(NEXT) | instid1(VALU_DEP_2)
	v_add_co_ci_u32_e64 v5, s2, s11, v3, s2
	v_add_co_u32 v6, s2, v4, s10
	global_load_b32 v29, v[2:3], off
	global_load_b32 v30, v[4:5], off
	s_wait_alu 0xf1ff
	v_add_co_ci_u32_e64 v7, s2, s11, v5, s2
	v_add_co_u32 v8, s2, v6, s10
	s_wait_alu 0xf1ff
	s_delay_alu instid0(VALU_DEP_2) | instskip(SKIP_3) | instid1(VALU_DEP_1)
	v_add_co_ci_u32_e64 v9, s2, s11, v7, s2
	global_load_b32 v6, v[6:7], off
	global_load_b32 v7, v[8:9], off
	v_mad_co_u64_u32 v[0:1], null, 0x140, s8, v[8:9]
	v_mad_co_u64_u32 v[1:2], null, 0x140, s9, v[1:2]
	s_delay_alu instid0(VALU_DEP_2) | instskip(SKIP_1) | instid1(VALU_DEP_2)
	v_add_co_u32 v2, s2, v0, s10
	s_wait_alu 0xf1ff
	v_add_co_ci_u32_e64 v3, s2, s11, v1, s2
	global_load_b32 v8, v[0:1], off
	v_add_co_u32 v0, s2, v2, s10
	s_wait_alu 0xf1ff
	v_add_co_ci_u32_e64 v1, s2, s11, v3, s2
	s_delay_alu instid0(VALU_DEP_2) | instskip(SKIP_1) | instid1(VALU_DEP_2)
	v_add_co_u32 v4, s2, v0, s10
	s_wait_alu 0xf1ff
	v_add_co_ci_u32_e64 v5, s2, s11, v1, s2
	global_load_b32 v2, v[2:3], off
	global_load_b32 v0, v[0:1], off
	;; [unrolled: 1-line block ×3, first 2 shown]
	v_add_nc_u32_e32 v3, 0x200, v33
	s_wait_loadcnt 0x19
	v_lshrrev_b32_e32 v4, 16, v10
	s_wait_loadcnt 0x18
	v_lshrrev_b32_e32 v5, 16, v11
	;; [unrolled: 2-line block ×5, first 2 shown]
	v_lshrrev_b32_e32 v36, 16, v15
	v_lshrrev_b32_e32 v35, 16, v14
	;; [unrolled: 1-line block ×4, first 2 shown]
	s_wait_loadcnt 0x10
	v_lshrrev_b32_e32 v40, 16, v20
	s_wait_loadcnt 0xf
	v_lshrrev_b32_e32 v41, 16, v21
	;; [unrolled: 2-line block ×5, first 2 shown]
	v_mul_f16_e32 v44, v4, v24
	s_delay_alu instid0(VALU_DEP_2) | instskip(NEXT) | instid1(VALU_DEP_2)
	v_mul_f16_e32 v4, v4, v43
	v_fma_f16 v43, v10, v43, -v44
	s_wait_loadcnt 0xb
	v_lshrrev_b32_e32 v46, 16, v25
	s_wait_loadcnt 0xa
	v_lshrrev_b32_e32 v44, 16, v26
	v_mul_f16_e32 v47, v39, v25
	v_mul_f16_e32 v48, v5, v26
	v_fmac_f16_e32 v4, v10, v24
	v_mul_f16_e32 v39, v39, v46
	v_mul_f16_e32 v5, v5, v44
	s_wait_loadcnt 0x9
	v_lshrrev_b32_e32 v24, 16, v27
	v_fma_f16 v46, v19, v46, -v47
	v_fma_f16 v10, v11, v44, -v48
	v_mul_f16_e32 v44, v9, v27
	v_fmac_f16_e32 v39, v19, v25
	v_fmac_f16_e32 v5, v11, v26
	v_mul_f16_e32 v9, v9, v24
	s_wait_loadcnt 0x8
	v_lshrrev_b32_e32 v19, 16, v28
	v_pack_b32_f16 v4, v4, v43
	v_fma_f16 v11, v12, v24, -v44
	v_mul_f16_e32 v24, v31, v28
	v_pack_b32_f16 v5, v5, v10
	v_fmac_f16_e32 v9, v12, v27
	v_mul_f16_e32 v10, v31, v19
	v_pack_b32_f16 v25, v39, v46
	v_fma_f16 v12, v13, v19, -v24
	s_wait_loadcnt 0x7
	v_lshrrev_b32_e32 v19, 16, v29
	ds_store_2addr_b32 v33, v4, v5 offset1:40
	v_pack_b32_f16 v4, v9, v11
	v_fmac_f16_e32 v10, v13, v28
	s_wait_loadcnt 0x6
	v_lshrrev_b32_e32 v9, 16, v30
	v_mul_f16_e32 v11, v36, v30
	v_mul_f16_e32 v24, v35, v29
	;; [unrolled: 1-line block ×3, first 2 shown]
	v_pack_b32_f16 v10, v10, v12
	v_mul_f16_e32 v12, v36, v9
	v_fma_f16 v9, v15, v9, -v11
	s_wait_loadcnt 0x5
	v_lshrrev_b32_e32 v11, 16, v6
	v_fma_f16 v13, v14, v19, -v24
	v_fmac_f16_e32 v5, v14, v29
	v_mul_f16_e32 v14, v37, v6
	ds_store_2addr_b32 v33, v4, v10 offset0:80 offset1:120
	s_wait_loadcnt 0x4
	v_lshrrev_b32_e32 v4, 16, v7
	v_mul_f16_e32 v10, v37, v11
	v_fmac_f16_e32 v12, v15, v30
	v_fma_f16 v11, v16, v11, -v14
	v_pack_b32_f16 v5, v5, v13
	v_mul_f16_e32 v15, v38, v4
	v_fmac_f16_e32 v10, v16, v6
	v_mul_f16_e32 v13, v38, v7
	v_pack_b32_f16 v9, v12, v9
	s_delay_alu instid0(VALU_DEP_4)
	v_fmac_f16_e32 v15, v18, v7
	s_wait_loadcnt 0x3
	v_lshrrev_b32_e32 v6, 16, v8
	v_mul_f16_e32 v7, v40, v8
	v_pack_b32_f16 v10, v10, v11
	v_fma_f16 v4, v18, v4, -v13
	s_delay_alu instid0(VALU_DEP_4) | instskip(NEXT) | instid1(VALU_DEP_4)
	v_mul_f16_e32 v11, v40, v6
	v_fma_f16 v6, v20, v6, -v7
	s_delay_alu instid0(VALU_DEP_3)
	v_pack_b32_f16 v4, v15, v4
	s_wait_loadcnt 0x2
	v_lshrrev_b32_e32 v7, 16, v2
	v_mul_f16_e32 v12, v41, v2
	v_fmac_f16_e32 v11, v20, v8
	s_wait_loadcnt 0x1
	v_lshrrev_b32_e32 v8, 16, v0
	s_wait_loadcnt 0x0
	v_lshrrev_b32_e32 v13, 16, v1
	v_mul_f16_e32 v14, v41, v7
	v_fma_f16 v7, v21, v7, -v12
	v_mul_f16_e32 v12, v42, v0
	v_mul_f16_e32 v15, v42, v8
	v_mul_f16_e32 v16, v45, v13
	v_mul_f16_e32 v18, v45, v1
	v_fmac_f16_e32 v14, v21, v2
	v_fma_f16 v2, v22, v8, -v12
	v_fmac_f16_e32 v15, v22, v0
	v_fmac_f16_e32 v16, v23, v1
	v_fma_f16 v0, v23, v13, -v18
	v_pack_b32_f16 v1, v11, v6
	v_add_nc_u32_e32 v6, 0x400, v33
	v_pack_b32_f16 v7, v14, v7
	v_pack_b32_f16 v2, v15, v2
	;; [unrolled: 1-line block ×3, first 2 shown]
	ds_store_2addr_b32 v33, v5, v9 offset0:160 offset1:200
	ds_store_2addr_b32 v3, v10, v4 offset0:112 offset1:152
	;; [unrolled: 1-line block ×4, first 2 shown]
	ds_store_b32 v33, v0 offset:1920
.LBB0_3:
	s_or_b32 exec_lo, exec_lo, s3
	s_load_b64 s[6:7], s[0:1], 0x20
	v_mov_b32_e32 v6, 0
	global_wb scope:SCOPE_SE
	s_wait_dscnt 0x0
	s_wait_kmcnt 0x0
	s_barrier_signal -1
	s_barrier_wait -1
	global_inv scope:SCOPE_SE
                                        ; implicit-def: $vgpr12
                                        ; implicit-def: $vgpr1
                                        ; implicit-def: $vgpr3
                                        ; implicit-def: $vgpr5
                                        ; implicit-def: $vgpr9
                                        ; implicit-def: $vgpr11
	s_and_saveexec_b32 s2, vcc_lo
	s_cbranch_execz .LBB0_5
; %bb.4:
	v_add_nc_u32_e32 v0, 0x200, v33
	v_add_nc_u32_e32 v1, 0x400, v33
	ds_load_2addr_b32 v[6:7], v33 offset1:40
	ds_load_2addr_b32 v[10:11], v33 offset0:80 offset1:120
	ds_load_2addr_b32 v[8:9], v33 offset0:160 offset1:200
	;; [unrolled: 1-line block ×5, first 2 shown]
	ds_load_b32 v12, v33 offset:1920
.LBB0_5:
	s_wait_alu 0xfffe
	s_or_b32 exec_lo, exec_lo, s2
	s_wait_dscnt 0x0
	v_pk_add_f16 v13, v7, v12 neg_lo:[0,1] neg_hi:[0,1]
	v_pk_add_f16 v14, v10, v1 neg_lo:[0,1] neg_hi:[0,1]
	v_pk_add_f16 v15, v12, v7
	v_pk_add_f16 v16, v1, v10
	v_lshrrev_b32_e32 v38, 16, v6
	v_lshrrev_b32_e32 v80, 16, v13
	v_lshrrev_b32_e32 v78, 16, v14
	v_lshrrev_b32_e32 v60, 16, v15
	v_mul_f16_e32 v58, 0xbbf1, v13
	v_pk_mul_f16 v18, 0x3b15388b, v15
	v_mul_f16_e32 v28, 0xb770, v80
	v_mul_f16_e32 v48, 0xbbf1, v80
	;; [unrolled: 1-line block ×4, first 2 shown]
	v_fma_f16 v21, v60, 0x2fb7, -v58
	v_fmamk_f16 v19, v15, 0x3b15, v28
	v_fmamk_f16 v20, v15, 0x2fb7, v48
	;; [unrolled: 1-line block ×3, first 2 shown]
	v_pk_fma_f16 v23, 0xba95b770, v13, v18 op_sel:[0,0,1] op_sel_hi:[1,1,0] neg_lo:[0,1,0] neg_hi:[0,1,0]
	v_pk_fma_f16 v24, 0xba95b770, v13, v18 op_sel:[0,0,1] op_sel_hi:[1,1,0]
	v_add_f16_e32 v19, v19, v6
	v_add_f16_e32 v25, v20, v6
	v_pk_add_f16 v20, v11, v0 neg_lo:[0,1] neg_hi:[0,1]
	v_fma_f16 v18, v60, 0x388b, -v44
	v_add_f16_e32 v26, v21, v38
	v_add_f16_e32 v19, v22, v19
	v_pk_mul_f16 v22, 0x388bb5ac, v16
	v_lshrrev_b32_e32 v81, 16, v20
	v_lshrrev_b32_e32 v62, 16, v16
	v_mul_f16_e32 v51, 0xbb7b, v14
	v_mul_f16_e32 v54, 0xb3a8, v78
	;; [unrolled: 1-line block ×3, first 2 shown]
	v_pk_add_f16 v21, v0, v11
	v_mul_f16_e32 v41, 0xbbf1, v81
	v_pk_fma_f16 v39, 0xbb7bba95, v14, v22 op_sel:[0,0,1] op_sel_hi:[1,1,0] neg_lo:[0,1,0] neg_hi:[0,1,0]
	v_pk_fma_f16 v40, 0xbb7bba95, v14, v22 op_sel:[0,0,1] op_sel_hi:[1,1,0]
	v_pk_add_f16 v22, v8, v3 neg_lo:[0,1] neg_hi:[0,1]
	v_add_f16_e32 v18, v18, v38
	v_fma_f16 v29, v62, 0xb5ac, -v51
	v_fmamk_f16 v30, v16, 0xbbc4, v54
	v_fma_f16 v31, v62, 0xbbc4, -v65
	v_fmamk_f16 v35, v21, 0x2fb7, v41
	v_lshrrev_b32_e32 v69, 16, v21
	v_mul_f16_e32 v57, 0xb3a8, v20
	v_mul_f16_e32 v61, 0x3b7b, v81
	v_lshrrev_b32_e32 v82, 16, v22
	v_mul_f16_e32 v70, 0x3b7b, v20
	v_add_f16_e32 v18, v29, v18
	v_add_f16_e32 v29, v30, v25
	;; [unrolled: 1-line block ×4, first 2 shown]
	v_pk_mul_f16 v30, 0x2fb7bbc4, v21
	v_fma_f16 v31, v69, 0xbbc4, -v57
	v_fmamk_f16 v35, v21, 0xb5ac, v61
	v_pk_add_f16 v25, v3, v8
	v_mul_f16_e32 v46, 0xbb7b, v82
	v_fma_f16 v36, v69, 0xb5ac, -v70
	v_pk_fma_f16 v43, 0xb3a8bbf1, v20, v30 op_sel:[0,0,1] op_sel_hi:[1,1,0] neg_lo:[0,1,0] neg_hi:[0,1,0]
	v_pk_fma_f16 v45, 0xb3a8bbf1, v20, v30 op_sel:[0,0,1] op_sel_hi:[1,1,0]
	v_add_f16_e32 v18, v31, v18
	v_add_f16_e32 v30, v35, v29
	v_fmamk_f16 v29, v25, 0xb5ac, v46
	v_add_f16_e32 v31, v36, v26
	v_pk_mul_f16 v35, 0xb5acb9fd, v25
	v_lshrrev_b32_e32 v71, 16, v25
	v_mul_f16_e32 v52, 0x394e, v22
	v_pk_add_f16 v26, v9, v2 neg_lo:[0,1] neg_hi:[0,1]
	v_add_f16_e32 v19, v29, v19
	v_pk_fma_f16 v49, 0x394ebb7b, v22, v35 op_sel:[0,0,1] op_sel_hi:[1,1,0] neg_lo:[0,1,0] neg_hi:[0,1,0]
	v_pk_fma_f16 v50, 0x394ebb7b, v22, v35 op_sel:[0,0,1] op_sel_hi:[1,1,0]
	v_fma_f16 v35, v71, 0xb9fd, -v52
	v_mul_f16_e32 v66, 0x3770, v82
	v_lshrrev_b32_e32 v83, 16, v26
	v_mul_f16_e32 v74, 0x3770, v22
	v_pk_add_f16 v29, v2, v9
	v_add_f16_e32 v18, v35, v18
	v_fmamk_f16 v35, v25, 0x3b15, v66
	v_mul_f16_e32 v53, 0xb94e, v83
	v_fma_f16 v36, v71, 0x3b15, -v74
	v_lshrrev_b32_e32 v75, 16, v29
	v_mul_f16_e32 v59, 0x3bf1, v26
	v_add_f16_e32 v30, v35, v30
	v_fmamk_f16 v35, v29, 0xb9fd, v53
	v_pk_mul_f16 v37, 0xb9fd2fb7, v29
	v_add_f16_e32 v31, v36, v31
	v_fma_f16 v36, v75, 0x2fb7, -v59
	v_mul_f16_e32 v63, 0xba95, v83
	v_add_f16_e32 v19, v35, v19
	v_pk_fma_f16 v55, 0x3bf1b94e, v26, v37 op_sel:[0,0,1] op_sel_hi:[1,1,0] neg_lo:[0,1,0] neg_hi:[0,1,0]
	v_pk_fma_f16 v56, 0x3bf1b94e, v26, v37 op_sel:[0,0,1] op_sel_hi:[1,1,0]
	v_add_f16_e32 v18, v36, v18
	v_fmamk_f16 v35, v29, 0x388b, v63
	v_pk_add_f16 v42, v4, v5 neg_lo:[0,1] neg_hi:[0,1]
	v_add_f16_e32 v36, v23, v38
	v_lshrrev_b32_e32 v37, 16, v24
	v_mul_f16_e32 v76, 0xba95, v26
	v_add_f16_e32 v35, v35, v30
	v_lshrrev_b32_e32 v84, 16, v42
	v_add_f16_e32 v30, v39, v36
	v_add_f16_e32 v36, v37, v6
	v_lshrrev_b32_e32 v37, 16, v40
	v_fma_f16 v67, v75, 0x388b, -v76
	v_pk_add_f16 v47, v5, v4
	v_mul_f16_e32 v64, 0xb3a8, v84
	v_add_f16_e32 v30, v43, v30
	v_add_f16_e32 v36, v37, v36
	v_lshrrev_b32_e32 v37, 16, v45
	s_load_b64 s[2:3], s[0:1], 0x8
	v_add_f16_e32 v31, v67, v31
	v_fmamk_f16 v67, v47, 0xbbc4, v64
	v_pk_mul_f16 v68, 0xbbc43b15, v47
	v_add_f16_e32 v30, v49, v30
	v_add_f16_e32 v37, v37, v36
	v_lshrrev_b32_e32 v72, 16, v50
	v_add_f16_e32 v36, v67, v19
	v_pk_fma_f16 v67, 0x3770b3a8, v42, v68 op_sel:[0,0,1] op_sel_hi:[1,1,0] neg_lo:[0,1,0] neg_hi:[0,1,0]
	v_add_f16_e32 v19, v55, v30
	v_lshrrev_b32_e32 v77, 16, v47
	v_add_f16_e32 v30, v72, v37
	v_lshrrev_b32_e32 v37, 16, v56
	v_pk_fma_f16 v68, 0x3770b3a8, v42, v68 op_sel:[0,0,1] op_sel_hi:[1,1,0]
	v_mul_f16_e32 v72, 0x3770, v42
	v_mul_f16_e32 v73, 0xb94e, v84
	;; [unrolled: 1-line block ×3, first 2 shown]
	v_add_f16_e32 v30, v37, v30
	v_lshrrev_b32_e32 v85, 16, v68
	v_fma_f16 v86, v77, 0x3b15, -v72
	v_fmamk_f16 v87, v47, 0xb9fd, v73
	v_fma_f16 v88, v77, 0xb9fd, -v79
	v_add_f16_e32 v37, v67, v19
	v_add_f16_e32 v19, v85, v30
	;; [unrolled: 1-line block ×5, first 2 shown]
	v_mul_lo_u16 v35, v34, 13
	global_wb scope:SCOPE_SE
	s_wait_kmcnt 0x0
	s_barrier_signal -1
	s_barrier_wait -1
	global_inv scope:SCOPE_SE
	s_and_saveexec_b32 s0, vcc_lo
	s_cbranch_execz .LBB0_7
; %bb.6:
	v_mul_f16_e32 v85, 0xb5ac, v60
	v_mul_f16_e32 v86, 0xbb7b, v80
	;; [unrolled: 1-line block ×5, first 2 shown]
	v_fmamk_f16 v90, v13, 0x3b7b, v85
	v_fmamk_f16 v92, v15, 0xb5ac, v86
	;; [unrolled: 1-line block ×3, first 2 shown]
	v_mul_f16_e32 v93, 0x2fb7, v71
	v_fmamk_f16 v95, v16, 0xb9fd, v88
	v_add_f16_e32 v90, v90, v38
	v_add_f16_e32 v92, v92, v6
	v_fmamk_f16 v97, v20, 0xb770, v89
	v_mul_f16_e32 v91, 0x3770, v81
	v_mul_f16_e32 v96, 0xbbf1, v82
	v_add_f16_e32 v90, v94, v90
	v_add_f16_e32 v92, v95, v92
	v_fmamk_f16 v95, v22, 0x3bf1, v93
	v_fmamk_f16 v94, v21, 0x3b15, v91
	v_mul_f16_e32 v102, 0x388b, v77
	v_add_f16_e32 v90, v97, v90
	v_mul_f16_e32 v97, 0xbbc4, v75
	v_fmamk_f16 v98, v25, 0x2fb7, v96
	v_add_f16_e32 v92, v94, v92
	v_mul_f16_e32 v99, 0x33a8, v83
	v_add_f16_e32 v90, v95, v90
	v_fmamk_f16 v100, v26, 0xb3a8, v97
	v_mul_f16_e32 v80, 0xb94e, v80
	v_add_f16_e32 v92, v98, v92
	v_fmamk_f16 v101, v29, 0xbbc4, v99
	;; [unrolled: 3-line block ×3, first 2 shown]
	v_fmamk_f16 v107, v15, 0xb9fd, v80
	v_add_f16_e32 v92, v101, v92
	v_mul_f16_e32 v94, 0xb9fd, v60
	v_mul_f16_e32 v81, 0xba95, v81
	v_add_f16_e32 v90, v100, v90
	v_mul_f16_e32 v100, 0x3a95, v84
	v_mul_f16_e32 v98, 0x2fb7, v62
	v_fmamk_f16 v95, v13, 0x394e, v94
	v_fmac_f16_e32 v94, 0xb94e, v13
	v_mul_f16_e32 v82, 0x33a8, v82
	v_fmamk_f16 v106, v47, 0x388b, v100
	v_fma_f16 v80, v15, 0xb9fd, -v80
	v_fmamk_f16 v103, v14, 0xbbf1, v98
	v_add_f16_e32 v94, v94, v38
	v_fmac_f16_e32 v98, 0x3bf1, v14
	v_add_f16_e32 v92, v106, v92
	v_add_f16_e32 v106, v107, v6
	v_fmamk_f16 v107, v16, 0x2fb7, v78
	v_mul_f16_e32 v83, 0x3770, v83
	v_add_f16_e32 v80, v80, v6
	v_fma_f16 v78, v16, 0x2fb7, -v78
	v_add_f16_e32 v94, v98, v94
	v_add_f16_e32 v106, v107, v106
	v_fmamk_f16 v107, v21, 0x388b, v81
	v_mul_f16_e32 v84, 0xbb7b, v84
	v_fmac_f16_e32 v85, 0xbb7b, v13
	v_add_f16_e32 v78, v78, v80
	v_fma_f16 v80, v21, 0x388b, -v81
	v_add_f16_e32 v106, v107, v106
	v_fmamk_f16 v107, v25, 0xbbc4, v82
	v_add_f16_e32 v81, v85, v38
	v_fmamk_f16 v85, v47, 0xb5ac, v84
	v_add_f16_e32 v78, v80, v78
	v_fma_f16 v80, v25, 0xbbc4, -v82
	v_add_f16_e32 v98, v107, v106
	v_fmamk_f16 v106, v29, 0x3b15, v83
	v_fma_f16 v84, v47, 0xb5ac, -v84
	v_fmac_f16_e32 v87, 0x394e, v14
	v_add_f16_e32 v78, v80, v78
	v_fma_f16 v80, v29, 0x3b15, -v83
	v_add_f16_e32 v98, v106, v98
	v_fmac_f16_e32 v89, 0x3770, v20
	v_add_f16_e32 v81, v87, v81
	v_mul_f16_e32 v87, 0x3b15, v15
	v_add_f16_e32 v78, v80, v78
	v_add_f16_e32 v83, v85, v98
	v_alignbit_b32 v85, v6, v6, 16
	v_fma_f16 v80, v15, 0xb5ac, -v86
	v_fma_f16 v86, v16, 0xb9fd, -v88
	v_add_f16_e32 v78, v84, v78
	v_mul_f16_e32 v84, 0x2fb7, v60
	v_pk_add_f16 v7, v7, v85 op_sel:[0,1] op_sel_hi:[1,0]
	v_add_f16_e32 v80, v80, v6
	v_mul_f16_e32 v60, 0x388b, v60
	v_mul_f16_e32 v88, 0x2fb7, v15
	v_add_f16_e32 v58, v58, v84
	v_pk_add_f16 v7, v10, v7
	v_add_f16_e32 v80, v86, v80
	v_mul_f16_e32 v86, 0xbbc4, v62
	v_fma_f16 v84, v21, 0x3b15, -v91
	v_mul_f16_e32 v62, 0xb5ac, v62
	v_add_f16_e32 v44, v44, v60
	v_pk_add_f16 v7, v11, v7
	v_add_f16_e32 v95, v95, v38
	v_mul_f16_e32 v104, 0x388b, v69
	v_add_f16_e32 v81, v89, v81
	v_add_f16_e32 v65, v65, v86
	v_mul_f16_e32 v86, 0x388b, v16
	v_add_f16_e32 v58, v58, v38
	v_add_f16_e32 v80, v84, v80
	v_mul_f16_e32 v84, 0xb5ac, v69
	v_fma_f16 v89, v25, 0x2fb7, -v96
	v_mul_f16_e32 v69, 0xbbc4, v69
	v_sub_f16_e32 v48, v88, v48
	v_add_f16_e32 v38, v44, v38
	v_add_f16_e32 v44, v51, v62
	v_sub_f16_e32 v28, v87, v28
	v_pk_add_f16 v7, v8, v7
	v_add_f16_e32 v95, v103, v95
	v_mul_f16_e32 v103, 0xbbc4, v71
	v_add_f16_e32 v58, v65, v58
	v_add_f16_e32 v70, v70, v84
	v_mul_f16_e32 v84, 0x2fb7, v21
	v_add_f16_e32 v80, v89, v80
	v_mul_f16_e32 v89, 0x3b15, v71
	v_fma_f16 v91, v29, 0xbbc4, -v99
	v_mul_f16_e32 v71, 0xb9fd, v71
	v_add_f16_e32 v48, v48, v6
	v_add_f16_e32 v38, v44, v38
	;; [unrolled: 1-line block ×4, first 2 shown]
	v_sub_f16_e32 v27, v86, v27
	v_pk_add_f16 v7, v9, v7
	v_mul_f16_e32 v105, 0x3b15, v75
	v_mul_f16_e32 v65, 0xbbc4, v16
	v_add_f16_e32 v58, v70, v58
	v_add_f16_e32 v74, v74, v89
	v_mul_f16_e32 v89, 0xb5ac, v25
	v_add_f16_e32 v80, v91, v80
	v_mul_f16_e32 v91, 0x388b, v75
	v_mul_f16_e32 v75, 0x2fb7, v75
	v_add_f16_e32 v38, v44, v38
	v_add_f16_e32 v10, v52, v71
	;; [unrolled: 1-line block ×3, first 2 shown]
	v_sub_f16_e32 v8, v84, v41
	v_pk_add_f16 v4, v4, v7
	v_add_f16_e32 v58, v74, v58
	v_mul_f16_e32 v74, 0xb9fd, v29
	v_sub_f16_e32 v54, v65, v54
	v_mul_f16_e32 v65, 0x3b15, v77
	v_add_f16_e32 v10, v10, v38
	v_add_f16_e32 v11, v59, v75
	;; [unrolled: 1-line block ×3, first 2 shown]
	v_sub_f16_e32 v8, v89, v46
	v_pk_add_f16 v4, v5, v4
	v_add_f16_e32 v76, v76, v91
	v_mul_f16_e32 v91, 0xbbc4, v47
	v_add_f16_e32 v10, v11, v10
	v_add_f16_e32 v11, v72, v65
	;; [unrolled: 1-line block ×3, first 2 shown]
	v_sub_f16_e32 v8, v74, v53
	v_pk_add_f16 v2, v2, v4
	v_and_b32_e32 v4, 0xffff, v35
	v_add_f16_e32 v9, v11, v10
	v_bfi_b32 v10, 0xffff, v24, v23
	v_add_f16_e32 v6, v8, v6
	v_sub_f16_e32 v8, v91, v64
	v_pk_mul_f16 v15, 0xbbc4, v15 op_sel_hi:[0,1]
	v_pk_add_f16 v2, v3, v2
	v_fmamk_f16 v101, v20, 0x3a95, v104
	v_bfi_b32 v7, 0xffff, v40, v39
	v_add_f16_e32 v6, v8, v6
	v_lshlrev_b32_e32 v3, 2, v4
	v_pk_add_f16 v4, v10, v85
	v_pk_fma_f16 v8, 0xb3a8, v13, v15 op_sel:[0,0,1] op_sel_hi:[0,1,0] neg_lo:[0,1,0] neg_hi:[0,1,0]
	v_pk_mul_f16 v10, 0x3b15, v16 op_sel_hi:[0,1]
	v_pk_add_f16 v0, v0, v2
	v_pk_fma_f16 v2, 0xb3a8, v13, v15 op_sel:[0,0,1] op_sel_hi:[0,1,0]
	v_fmac_f16_e32 v93, 0xbbf1, v22
	v_mul_f16_e32 v70, 0xb5ac, v21
	v_add_f16_e32 v95, v101, v95
	v_fmamk_f16 v101, v22, 0xb3a8, v103
	v_fmac_f16_e32 v104, 0xba95, v20
	v_bfi_b32 v11, 0xffff, v45, v43
	v_pk_add_f16 v4, v7, v4
	v_pk_add_f16 v7, v8, v85
	v_pk_fma_f16 v8, 0x3770, v14, v10 op_sel:[0,0,1] op_sel_hi:[0,1,0] neg_lo:[0,1,0] neg_hi:[0,1,0]
	v_pk_mul_f16 v13, 0xb9fd, v21 op_sel_hi:[0,1]
	v_pk_add_f16 v2, v2, v85
	v_pk_fma_f16 v10, 0x3770, v14, v10 op_sel:[0,0,1] op_sel_hi:[0,1,0]
	v_add_f16_e32 v81, v93, v81
	v_mul_f16_e32 v93, 0x3b15, v25
	v_add_f16_e32 v48, v54, v48
	v_sub_f16_e32 v54, v70, v61
	v_add_f16_e32 v95, v101, v95
	v_fmamk_f16 v101, v26, 0xb770, v105
	v_add_f16_e32 v94, v104, v94
	v_fmac_f16_e32 v103, 0x33a8, v22
	v_bfi_b32 v5, 0xffff, v50, v49
	v_pk_add_f16 v4, v11, v4
	v_pk_add_f16 v7, v8, v7
	v_pk_fma_f16 v8, 0xb94e, v20, v13 op_sel:[0,0,1] op_sel_hi:[0,1,0] neg_lo:[0,1,0] neg_hi:[0,1,0]
	v_pk_mul_f16 v11, 0x388b, v25 op_sel_hi:[0,1]
	v_pk_add_f16 v2, v10, v2
	v_pk_fma_f16 v10, 0xb94e, v20, v13 op_sel:[0,0,1] op_sel_hi:[0,1,0]
	v_mul_f16_e32 v88, 0x388b, v29
	v_add_f16_e32 v48, v54, v48
	v_sub_f16_e32 v54, v93, v66
	v_add_f16_e32 v95, v101, v95
	v_mul_f16_e32 v101, 0xb5ac, v77
	v_add_f16_e32 v94, v103, v94
	v_fmac_f16_e32 v105, 0x3770, v26
	v_bfi_b32 v23, 0xffff, v56, v55
	v_pk_add_f16 v4, v5, v4
	v_pk_add_f16 v5, v8, v7
	v_pk_fma_f16 v7, 0x3a95, v22, v11 op_sel:[0,0,1] op_sel_hi:[0,1,0] neg_lo:[0,1,0] neg_hi:[0,1,0]
	v_pk_mul_f16 v8, 0xb5ac, v29 op_sel_hi:[0,1]
	v_pk_add_f16 v2, v10, v2
	v_pk_fma_f16 v10, 0x3a95, v22, v11 op_sel:[0,0,1] op_sel_hi:[0,1,0]
	v_fmac_f16_e32 v97, 0x33a8, v26
	v_mul_f16_e32 v60, 0xb9fd, v47
	v_mul_f16_e32 v77, 0xb9fd, v77
	v_add_f16_e32 v48, v54, v48
	v_sub_f16_e32 v54, v88, v63
	v_fmamk_f16 v108, v42, 0x3b7b, v101
	v_add_f16_e32 v82, v105, v94
	v_fmac_f16_e32 v101, 0xbb7b, v42
	v_bfi_b32 v24, 0xffff, v68, v67
	v_pk_add_f16 v4, v23, v4
	v_pk_add_f16 v5, v7, v5
	v_pk_fma_f16 v7, 0xbb7b, v26, v8 op_sel:[0,0,1] op_sel_hi:[0,1,0] neg_lo:[0,1,0] neg_hi:[0,1,0]
	v_pk_mul_f16 v11, 0x2fb7, v47 op_sel_hi:[0,1]
	v_pk_add_f16 v2, v10, v2
	v_pk_fma_f16 v8, 0xbb7b, v26, v8 op_sel:[0,0,1] op_sel_hi:[0,1,0]
	v_add_f16_e32 v81, v97, v81
	v_fmac_f16_e32 v102, 0x3a95, v42
	v_fma_f16 v94, v47, 0x388b, -v100
	v_add_f16_e32 v58, v76, v58
	v_add_f16_e32 v61, v79, v77
	;; [unrolled: 1-line block ×3, first 2 shown]
	v_sub_f16_e32 v28, v60, v73
	v_add_f16_e32 v82, v101, v82
	v_pk_add_f16 v0, v1, v0
	v_pk_add_f16 v1, v24, v4
	;; [unrolled: 1-line block ×3, first 2 shown]
	v_pk_fma_f16 v5, 0x3bf1, v42, v11 op_sel:[0,0,1] op_sel_hi:[0,1,0] neg_lo:[0,1,0] neg_hi:[0,1,0]
	v_pk_add_f16 v2, v8, v2
	v_pk_fma_f16 v7, 0x3bf1, v42, v11 op_sel:[0,0,1] op_sel_hi:[0,1,0]
	v_add_f16_e32 v81, v102, v81
	v_add_f16_e32 v51, v94, v80
	v_add_f16_e32 v58, v61, v58
	v_add_f16_e32 v27, v28, v44
	v_pk_add_f16 v0, v12, v0
	v_alignbit_b32 v8, v9, v1, 16
	v_pack_b32_f16 v9, v78, v82
	v_pk_add_f16 v4, v5, v4
	v_pk_add_f16 v2, v7, v2
	v_add_f16_e32 v95, v108, v95
	v_pack_b32_f16 v1, v6, v1
	v_pack_b32_f16 v5, v27, v58
	;; [unrolled: 1-line block ×3, first 2 shown]
	ds_store_2addr_b32 v3, v0, v9 offset1:5
	v_alignbit_b32 v0, v4, v2, 16
	v_alignbit_b32 v2, v2, v4, 16
	v_pack_b32_f16 v4, v92, v90
	v_pack_b32_f16 v7, v83, v95
	v_perm_b32 v9, v30, v19, 0x5040100
	v_perm_b32 v10, v31, v18, 0x5040100
	;; [unrolled: 1-line block ×3, first 2 shown]
	ds_store_2addr_b32 v3, v1, v8 offset0:1 offset1:2
	ds_store_2addr_b32 v3, v5, v6 offset0:3 offset1:4
	;; [unrolled: 1-line block ×5, first 2 shown]
	ds_store_b32 v3, v11 offset:48
.LBB0_7:
	s_wait_alu 0xfffe
	s_or_b32 exec_lo, exec_lo, s0
	v_and_b32_e32 v0, 0xff, v34
	s_load_b128 s[20:23], s[6:7], 0x0
	global_wb scope:SCOPE_SE
	s_wait_dscnt 0x0
	s_wait_kmcnt 0x0
	s_barrier_signal -1
	s_barrier_wait -1
	v_mul_lo_u16 v0, 0x4f, v0
	global_inv scope:SCOPE_SE
	v_add_nc_u32_e32 v12, 0x200, v33
	v_add_nc_u32_e32 v58, 0x400, v33
	v_cmp_gt_u16_e64 s0, 26, v34
	v_lshrrev_b16 v16, 10, v0
	s_delay_alu instid0(VALU_DEP_1) | instskip(SKIP_1) | instid1(VALU_DEP_2)
	v_mul_lo_u16 v0, v16, 13
	v_and_b32_e32 v16, 0xffff, v16
	v_sub_nc_u16 v0, v34, v0
	s_delay_alu instid0(VALU_DEP_2) | instskip(NEXT) | instid1(VALU_DEP_2)
	v_mul_u32_u24_e32 v16, 0x82, v16
	v_and_b32_e32 v22, 0xff, v0
	s_delay_alu instid0(VALU_DEP_1) | instskip(NEXT) | instid1(VALU_DEP_3)
	v_mad_co_u64_u32 v[8:9], null, v22, 36, s[2:3]
	v_add_lshl_u32 v38, v16, v22, 2
	s_clause 0x2
	global_load_b128 v[4:7], v[8:9], off
	global_load_b128 v[0:3], v[8:9], off offset:16
	global_load_b32 v39, v[8:9], off offset:32
	ds_load_2addr_b32 v[8:9], v33 offset1:52
	ds_load_2addr_b32 v[10:11], v33 offset0:104 offset1:156
	ds_load_2addr_b32 v[12:13], v12 offset0:80 offset1:132
	ds_load_2addr_b32 v[14:15], v58 offset0:56 offset1:108
	ds_load_2addr_b32 v[20:21], v58 offset0:160 offset1:212
	global_wb scope:SCOPE_SE
	s_wait_loadcnt_dscnt 0x0
	s_barrier_signal -1
	s_barrier_wait -1
	global_inv scope:SCOPE_SE
	v_lshrrev_b32_e32 v27, 16, v12
	v_lshrrev_b32_e32 v24, 16, v9
	;; [unrolled: 1-line block ×19, first 2 shown]
	v_mul_f16_e32 v16, v24, v56
	v_mul_f16_e32 v22, v9, v56
	;; [unrolled: 1-line block ×18, first 2 shown]
	v_fma_f16 v9, v9, v4, -v16
	v_fmac_f16_e32 v22, v24, v4
	v_fma_f16 v10, v10, v5, -v43
	v_fmac_f16_e32 v44, v25, v5
	;; [unrolled: 2-line block ×9, first 2 shown]
	v_add_f16_e32 v21, v8, v10
	v_add_f16_e32 v24, v12, v14
	v_sub_f16_e32 v27, v10, v12
	v_sub_f16_e32 v28, v16, v14
	;; [unrolled: 1-line block ×4, first 2 shown]
	v_add_f16_e32 v42, v23, v44
	v_sub_f16_e32 v47, v44, v48
	v_sub_f16_e32 v59, v66, v62
	v_add_f16_e32 v65, v9, v11
	v_add_f16_e32 v67, v13, v15
	;; [unrolled: 1-line block ×6, first 2 shown]
	v_sub_f16_e32 v25, v44, v66
	v_sub_f16_e32 v26, v48, v62
	v_add_f16_e32 v29, v10, v16
	v_add_f16_e32 v43, v48, v62
	v_sub_f16_e32 v45, v12, v14
	v_add_f16_e32 v61, v44, v66
	v_sub_f16_e32 v44, v48, v44
	v_sub_f16_e32 v69, v46, v68
	;; [unrolled: 1-line block ×6, first 2 shown]
	v_add_f16_e32 v12, v21, v12
	v_fma_f16 v21, -0.5, v24, v8
	v_add_f16_e32 v24, v27, v28
	v_add_f16_e32 v27, v40, v41
	;; [unrolled: 1-line block ×5, first 2 shown]
	v_fma_f16 v42, -0.5, v67, v9
	v_add_f16_e32 v47, v76, v60
	v_fma_f16 v48, -0.5, v77, v22
	v_sub_f16_e32 v63, v62, v66
	v_sub_f16_e32 v70, v60, v64
	v_fmac_f16_e32 v9, -0.5, v73
	v_fmac_f16_e32 v22, -0.5, v81
	v_sub_f16_e32 v72, v20, v15
	v_sub_f16_e32 v75, v15, v20
	;; [unrolled: 1-line block ×5, first 2 shown]
	v_fmac_f16_e32 v8, -0.5, v29
	v_fma_f16 v29, -0.5, v43, v23
	v_fmac_f16_e32 v23, -0.5, v61
	v_add_f16_e32 v13, v13, v15
	v_fmamk_f16 v15, v69, 0x3b9c, v42
	v_add_f16_e32 v47, v47, v64
	v_fmamk_f16 v64, v11, 0xbb9c, v48
	v_sub_f16_e32 v10, v10, v16
	v_sub_f16_e32 v46, v60, v46
	v_add_f16_e32 v41, v44, v63
	v_fmamk_f16 v63, v70, 0xbb9c, v9
	v_fmac_f16_e32 v9, 0x3b9c, v70
	v_fmamk_f16 v65, v78, 0x3b9c, v22
	v_fmac_f16_e32 v22, 0xbb9c, v78
	v_fmac_f16_e32 v42, 0xbb9c, v69
	;; [unrolled: 1-line block ×3, first 2 shown]
	v_add_f16_e32 v43, v71, v72
	v_add_f16_e32 v59, v79, v80
	;; [unrolled: 1-line block ×4, first 2 shown]
	v_fmamk_f16 v62, v45, 0x3b9c, v23
	v_fmac_f16_e32 v23, 0xbb9c, v45
	v_fmac_f16_e32 v15, 0x38b4, v70
	;; [unrolled: 1-line block ×3, first 2 shown]
	v_add_f16_e32 v44, v74, v75
	v_add_f16_e32 v46, v46, v82
	v_fmamk_f16 v14, v25, 0x3b9c, v21
	v_fmac_f16_e32 v21, 0xbb9c, v25
	v_fmamk_f16 v61, v10, 0xbb9c, v29
	v_fmac_f16_e32 v29, 0x3b9c, v10
	v_fmac_f16_e32 v63, 0x38b4, v69
	;; [unrolled: 1-line block ×5, first 2 shown]
	v_fmamk_f16 v60, v26, 0xbb9c, v8
	v_fmac_f16_e32 v8, 0x3b9c, v26
	v_fmac_f16_e32 v42, 0xb8b4, v70
	;; [unrolled: 1-line block ×3, first 2 shown]
	v_add_f16_e32 v12, v12, v16
	v_add_f16_e32 v16, v28, v66
	v_fmac_f16_e32 v62, 0xb8b4, v10
	v_fmac_f16_e32 v23, 0x38b4, v10
	v_add_f16_e32 v10, v13, v20
	v_add_f16_e32 v13, v47, v68
	v_fmac_f16_e32 v15, 0x34f2, v43
	v_fmac_f16_e32 v64, 0x34f2, v59
	;; [unrolled: 1-line block ×14, first 2 shown]
	v_add_f16_e32 v11, v12, v10
	v_add_f16_e32 v20, v16, v13
	v_sub_f16_e32 v10, v12, v10
	v_sub_f16_e32 v12, v16, v13
	v_mul_f16_e32 v13, 0x38b4, v64
	v_mul_f16_e32 v28, 0xb8b4, v15
	v_fmac_f16_e32 v14, 0x34f2, v24
	v_fmac_f16_e32 v21, 0x34f2, v24
	;; [unrolled: 1-line block ×4, first 2 shown]
	v_mul_f16_e32 v16, 0x3b9c, v65
	v_mul_f16_e32 v24, 0x34f2, v9
	;; [unrolled: 1-line block ×4, first 2 shown]
	v_fmac_f16_e32 v60, 0x34f2, v27
	v_fmac_f16_e32 v8, 0x34f2, v27
	v_mul_f16_e32 v25, 0x3a79, v42
	v_mul_f16_e32 v27, 0x3a79, v48
	v_fmac_f16_e32 v13, 0x3a79, v15
	v_fmac_f16_e32 v28, 0x3a79, v64
	;; [unrolled: 1-line block ×4, first 2 shown]
	v_pack_b32_f16 v10, v10, v12
	v_fmac_f16_e32 v16, 0x34f2, v63
	v_fma_f16 v12, v22, 0x3b9c, -v24
	v_fmac_f16_e32 v40, 0x34f2, v65
	v_fma_f16 v9, v9, 0xbb9c, -v26
	v_pack_b32_f16 v11, v11, v20
	v_fma_f16 v15, v48, 0x38b4, -v25
	v_fma_f16 v20, v42, 0xb8b4, -v27
	v_add_f16_e32 v22, v14, v13
	v_add_f16_e32 v42, v61, v28
	;; [unrolled: 1-line block ×8, first 2 shown]
	v_sub_f16_e32 v13, v14, v13
	v_sub_f16_e32 v14, v60, v16
	;; [unrolled: 1-line block ×8, first 2 shown]
	v_pack_b32_f16 v9, v22, v42
	v_pack_b32_f16 v15, v24, v43
	;; [unrolled: 1-line block ×8, first 2 shown]
	ds_store_2addr_b32 v38, v11, v9 offset1:13
	ds_store_2addr_b32 v38, v15, v16 offset0:26 offset1:39
	ds_store_2addr_b32 v38, v20, v10 offset0:52 offset1:65
	;; [unrolled: 1-line block ×4, first 2 shown]
	global_wb scope:SCOPE_SE
	s_wait_dscnt 0x0
	s_barrier_signal -1
	s_barrier_wait -1
	global_inv scope:SCOPE_SE
	ds_load_2addr_b32 v[20:21], v33 offset1:52
	ds_load_2addr_b32 v[28:29], v33 offset0:130 offset1:182
	ds_load_2addr_b32 v[24:25], v58 offset0:4 offset1:56
	;; [unrolled: 1-line block ×3, first 2 shown]
	s_and_saveexec_b32 s1, s0
	s_cbranch_execz .LBB0_9
; %bb.8:
	ds_load_2addr_b32 v[26:27], v33 offset0:104 offset1:234
	ds_load_2addr_b32 v[18:19], v58 offset0:108 offset1:238
	s_wait_dscnt 0x1
	v_lshrrev_b32_e32 v59, 16, v26
	v_lshrrev_b32_e32 v62, 16, v27
	s_wait_dscnt 0x0
	v_lshrrev_b32_e32 v31, 16, v18
	v_lshrrev_b32_e32 v30, 16, v19
.LBB0_9:
	s_wait_alu 0xfffe
	s_or_b32 exec_lo, exec_lo, s1
	v_mad_co_u64_u32 v[8:9], null, v34, 12, s[2:3]
	s_wait_dscnt 0x2
	v_lshrrev_b32_e32 v40, 16, v28
	s_wait_dscnt 0x1
	v_lshrrev_b32_e32 v41, 16, v24
	;; [unrolled: 2-line block ×3, first 2 shown]
	v_lshrrev_b32_e32 v61, 16, v29
	v_lshrrev_b32_e32 v65, 16, v23
	;; [unrolled: 1-line block ×3, first 2 shown]
	s_clause 0x1
	global_load_b96 v[14:16], v[8:9], off offset:468
	global_load_b96 v[11:13], v[8:9], off offset:1092
	v_add_nc_u32_e32 v8, 0x68, v34
	v_subrev_nc_u32_e32 v9, 26, v34
	v_lshrrev_b32_e32 v60, 16, v20
	v_lshrrev_b32_e32 v63, 16, v21
	s_delay_alu instid0(VALU_DEP_3) | instskip(NEXT) | instid1(VALU_DEP_1)
	v_cndmask_b32_e64 v8, v9, v8, s0
	v_mul_i32_i24_e32 v9, 12, v8
	v_mul_hi_i32_i24_e32 v10, 12, v8
	s_delay_alu instid0(VALU_DEP_2) | instskip(SKIP_1) | instid1(VALU_DEP_2)
	v_add_co_u32 v8, s1, s2, v9
	s_wait_alu 0xf1ff
	v_add_co_ci_u32_e64 v9, s1, s3, v10, s1
	global_load_b96 v[8:10], v[8:9], off offset:468
	s_wait_loadcnt 0x2
	v_lshrrev_b32_e32 v48, 16, v14
	v_lshrrev_b32_e32 v47, 16, v15
	;; [unrolled: 1-line block ×3, first 2 shown]
	s_wait_loadcnt 0x1
	v_lshrrev_b32_e32 v45, 16, v11
	v_lshrrev_b32_e32 v44, 16, v12
	;; [unrolled: 1-line block ×3, first 2 shown]
	v_mul_f16_e32 v66, v40, v48
	v_mul_f16_e32 v67, v28, v48
	;; [unrolled: 1-line block ×12, first 2 shown]
	v_fma_f16 v28, v28, v14, -v66
	v_fmac_f16_e32 v67, v40, v14
	v_fma_f16 v24, v24, v15, -v68
	v_fmac_f16_e32 v69, v41, v15
	;; [unrolled: 2-line block ×4, first 2 shown]
	v_fma_f16 v23, v23, v13, -v76
	s_wait_loadcnt 0x0
	v_lshrrev_b32_e32 v41, 16, v8
	v_lshrrev_b32_e32 v42, 16, v9
	;; [unrolled: 1-line block ×3, first 2 shown]
	v_fmac_f16_e32 v73, v61, v11
	v_fma_f16 v25, v25, v12, -v74
	v_fmac_f16_e32 v77, v65, v13
	v_sub_f16_e32 v64, v20, v24
	v_sub_f16_e32 v65, v60, v69
	;; [unrolled: 1-line block ×6, first 2 shown]
	v_mul_f16_e32 v70, v62, v41
	v_mul_f16_e32 v72, v27, v41
	;; [unrolled: 1-line block ×6, first 2 shown]
	v_sub_f16_e32 v66, v21, v25
	v_sub_f16_e32 v23, v73, v77
	v_fma_f16 v77, v60, 2.0, -v65
	v_add_f16_e32 v61, v65, v22
	v_add_f16_e32 v60, v68, v69
	v_fma_f16 v27, v27, v8, -v70
	v_fmac_f16_e32 v72, v62, v8
	v_fma_f16 v18, v18, v9, -v71
	v_fmac_f16_e32 v74, v31, v9
	;; [unrolled: 2-line block ×3, first 2 shown]
	v_fma_f16 v20, v20, 2.0, -v64
	v_fma_f16 v28, v28, 2.0, -v22
	v_fma_f16 v67, v67, 2.0, -v24
	v_fma_f16 v78, v21, 2.0, -v66
	v_fma_f16 v79, v63, 2.0, -v68
	v_fma_f16 v22, v29, 2.0, -v69
	v_fma_f16 v29, v73, 2.0, -v23
	v_fma_f16 v69, v65, 2.0, -v61
	v_fma_f16 v65, v68, 2.0, -v60
	v_sub_f16_e32 v18, v26, v18
	v_sub_f16_e32 v68, v59, v74
	;; [unrolled: 1-line block ×10, first 2 shown]
	v_fma_f16 v70, v26, 2.0, -v18
	v_fma_f16 v59, v59, 2.0, -v68
	;; [unrolled: 1-line block ×10, first 2 shown]
	v_sub_f16_e32 v27, v18, v30
	v_add_f16_e32 v62, v68, v19
	v_sub_f16_e32 v26, v70, v26
	v_sub_f16_e32 v66, v59, v31
	v_pack_b32_f16 v19, v20, v64
	v_pack_b32_f16 v78, v28, v71
	v_fma_f16 v31, v18, 2.0, -v27
	v_fma_f16 v30, v70, 2.0, -v26
	;; [unrolled: 1-line block ×4, first 2 shown]
	v_pack_b32_f16 v74, v21, v69
	v_pack_b32_f16 v77, v29, v65
	;; [unrolled: 1-line block ×6, first 2 shown]
	ds_store_2addr_b32 v33, v19, v78 offset1:52
	ds_store_2addr_b32 v33, v74, v77 offset0:130 offset1:182
	ds_store_2addr_b32 v58, v76, v72 offset0:4 offset1:56
	;; [unrolled: 1-line block ×3, first 2 shown]
	s_and_saveexec_b32 s1, s0
	s_cbranch_execz .LBB0_11
; %bb.10:
	v_perm_b32 v18, v70, v30, 0x5040100
	v_perm_b32 v19, v68, v31, 0x5040100
	v_perm_b32 v58, v66, v26, 0x5040100
	v_perm_b32 v59, v62, v27, 0x5040100
	v_add_nc_u32_e32 v72, 0x400, v33
	ds_store_2addr_b32 v33, v18, v19 offset0:104 offset1:234
	ds_store_2addr_b32 v72, v58, v59 offset0:108 offset1:238
.LBB0_11:
	s_wait_alu 0xfffe
	s_or_b32 exec_lo, exec_lo, s1
	global_wb scope:SCOPE_SE
	s_wait_dscnt 0x0
	s_barrier_signal -1
	s_barrier_wait -1
	global_inv scope:SCOPE_SE
	s_and_saveexec_b32 s1, vcc_lo
	s_cbranch_execz .LBB0_13
; %bb.12:
	global_load_b32 v18, v33, s[24:25] offset:2080
	s_add_nc_u64 s[2:3], s[24:25], 0x820
	s_clause 0xb
	global_load_b32 v80, v33, s[2:3] offset:160
	global_load_b32 v81, v33, s[2:3] offset:320
	;; [unrolled: 1-line block ×12, first 2 shown]
	ds_load_b32 v19, v33
	v_add_nc_u32_e32 v92, 0x400, v33
	s_wait_dscnt 0x0
	v_lshrrev_b32_e32 v58, 16, v19
	s_wait_loadcnt 0xb
	v_lshrrev_b32_e32 v93, 16, v80
	s_wait_loadcnt 0xa
	;; [unrolled: 2-line block ×8, first 2 shown]
	v_lshrrev_b32_e32 v100, 16, v87
	v_lshrrev_b32_e32 v59, 16, v18
	s_wait_loadcnt 0x3
	v_lshrrev_b32_e32 v101, 16, v88
	s_wait_loadcnt 0x2
	;; [unrolled: 2-line block ×4, first 2 shown]
	v_lshrrev_b32_e32 v104, 16, v91
	v_mul_f16_e32 v72, v58, v59
	v_mul_f16_e32 v59, v19, v59
	s_delay_alu instid0(VALU_DEP_2) | instskip(NEXT) | instid1(VALU_DEP_2)
	v_fma_f16 v19, v19, v18, -v72
	v_fmac_f16_e32 v59, v58, v18
	s_delay_alu instid0(VALU_DEP_1)
	v_pack_b32_f16 v18, v19, v59
	ds_store_b32 v33, v18
	ds_load_2addr_b32 v[18:19], v33 offset0:40 offset1:80
	ds_load_2addr_b32 v[58:59], v33 offset0:120 offset1:160
	ds_load_2addr_b32 v[72:73], v33 offset0:200 offset1:240
	ds_load_2addr_b32 v[74:75], v92 offset0:24 offset1:64
	ds_load_2addr_b32 v[76:77], v92 offset0:104 offset1:144
	ds_load_2addr_b32 v[78:79], v92 offset0:184 offset1:224
	s_wait_dscnt 0x5
	v_lshrrev_b32_e32 v105, 16, v18
	v_lshrrev_b32_e32 v107, 16, v19
	s_wait_dscnt 0x4
	v_lshrrev_b32_e32 v109, 16, v58
	v_lshrrev_b32_e32 v111, 16, v59
	;; [unrolled: 3-line block ×5, first 2 shown]
	v_mul_f16_e32 v106, v18, v93
	v_mul_f16_e32 v108, v19, v94
	s_wait_dscnt 0x0
	v_lshrrev_b32_e32 v125, 16, v78
	v_lshrrev_b32_e32 v127, 16, v79
	v_mul_f16_e32 v93, v105, v93
	v_mul_f16_e32 v94, v107, v94
	;; [unrolled: 1-line block ×19, first 2 shown]
	v_mul_f16_e64 v128, v79, v104
	v_fmac_f16_e32 v106, v105, v80
	v_fmac_f16_e32 v108, v107, v81
	v_mul_f16_e32 v103, v125, v103
	v_mul_f16_e32 v104, v127, v104
	v_fma_f16 v18, v18, v80, -v93
	v_fma_f16 v19, v19, v81, -v94
	v_fmac_f16_e32 v110, v109, v82
	v_fmac_f16_e32 v112, v111, v83
	v_fma_f16 v58, v58, v82, -v95
	v_fma_f16 v59, v59, v83, -v96
	v_fmac_f16_e32 v114, v113, v84
	v_fmac_f16_e32 v116, v115, v85
	v_fma_f16 v72, v72, v84, -v97
	v_fma_f16 v73, v73, v85, -v98
	v_fmac_f16_e32 v118, v117, v86
	v_fmac_f16_e32 v120, v119, v87
	v_fma_f16 v74, v74, v86, -v99
	v_fma_f16 v75, v75, v87, -v100
	v_fmac_f16_e32 v122, v121, v88
	v_fmac_f16_e32 v124, v123, v89
	v_fma_f16 v76, v76, v88, -v101
	v_fma_f16 v77, v77, v89, -v102
	v_fmac_f16_e32 v126, v125, v90
	v_fmac_f16_e64 v128, v127, v91
	v_fma_f16 v78, v78, v90, -v103
	v_fma_f16 v79, v79, v91, -v104
	v_pack_b32_f16 v18, v18, v106
	v_pack_b32_f16 v19, v19, v108
	;; [unrolled: 1-line block ×12, first 2 shown]
	ds_store_2addr_b32 v33, v18, v19 offset0:40 offset1:80
	ds_store_2addr_b32 v33, v58, v59 offset0:120 offset1:160
	ds_store_2addr_b32 v33, v72, v73 offset0:200 offset1:240
	ds_store_2addr_b32 v92, v74, v75 offset0:24 offset1:64
	ds_store_2addr_b32 v92, v76, v77 offset0:104 offset1:144
	ds_store_2addr_b32 v92, v78, v79 offset0:184 offset1:224
.LBB0_13:
	s_wait_alu 0xfffe
	s_or_b32 exec_lo, exec_lo, s1
	global_wb scope:SCOPE_SE
	s_wait_dscnt 0x0
	s_barrier_signal -1
	s_barrier_wait -1
	global_inv scope:SCOPE_SE
	s_and_saveexec_b32 s1, vcc_lo
	s_cbranch_execz .LBB0_15
; %bb.14:
	v_add_nc_u32_e32 v18, 0x200, v33
	v_add_nc_u32_e32 v19, 0x400, v33
	ds_load_2addr_b32 v[20:21], v33 offset1:40
	ds_load_2addr_b32 v[24:25], v33 offset0:80 offset1:120
	ds_load_2addr_b32 v[28:29], v33 offset0:160 offset1:200
	;; [unrolled: 1-line block ×5, first 2 shown]
	ds_load_b32 v36, v33 offset:1920
	s_wait_dscnt 0x4
	v_lshrrev_b32_e32 v71, 16, v28
	v_lshrrev_b32_e32 v65, 16, v29
	;; [unrolled: 1-line block ×6, first 2 shown]
	s_wait_dscnt 0x3
	v_lshrrev_b32_e32 v63, 16, v22
	v_lshrrev_b32_e32 v60, 16, v23
	s_wait_dscnt 0x2
	v_lshrrev_b32_e32 v70, 16, v30
	v_lshrrev_b32_e32 v68, 16, v31
	;; [unrolled: 3-line block ×3, first 2 shown]
	s_wait_dscnt 0x0
	v_lshrrev_b32_e32 v37, 16, v36
.LBB0_15:
	s_wait_alu 0xfffe
	s_or_b32 exec_lo, exec_lo, s1
	s_delay_alu instid0(VALU_DEP_1)
	v_sub_f16_e32 v82, v69, v37
	v_add_f16_e32 v86, v37, v69
	v_add_f16_e32 v72, v36, v21
	v_sub_f16_e32 v83, v67, v62
	v_sub_f16_e32 v74, v21, v36
	v_mul_f16_e32 v90, 0xba95, v82
	v_mul_f16_e32 v94, 0x388b, v86
	v_add_f16_e32 v73, v27, v24
	v_add_f16_e32 v89, v62, v67
	v_mul_f16_e32 v102, 0xbbf1, v82
	v_fma_f16 v18, v72, 0x388b, -v90
	v_mul_f16_e32 v106, 0x2fb7, v86
	v_mul_f16_e32 v92, 0xbb7b, v83
	v_fmamk_f16 v19, v74, 0xba95, v94
	v_fma_f16 v58, v72, 0x2fb7, -v102
	v_add_f16_e32 v18, v20, v18
	v_fmamk_f16 v59, v74, 0xbbf1, v106
	v_fma_f16 v76, v73, 0xb5ac, -v92
	v_sub_f16_e32 v75, v24, v27
	v_mul_f16_e32 v100, 0xb5ac, v89
	v_sub_f16_e32 v87, v61, v66
	v_mul_f16_e32 v107, 0xb3a8, v83
	v_mul_f16_e32 v111, 0xbbc4, v89
	v_add_f16_e32 v93, v66, v61
	v_add_f16_e32 v19, v64, v19
	;; [unrolled: 1-line block ×5, first 2 shown]
	v_fmamk_f16 v78, v75, 0xbb7b, v100
	v_add_f16_e32 v76, v26, v25
	v_mul_f16_e32 v96, 0xb3a8, v87
	v_fma_f16 v79, v73, 0xbbc4, -v107
	v_fmamk_f16 v80, v75, 0xb3a8, v111
	v_sub_f16_e32 v77, v25, v26
	v_mul_f16_e32 v103, 0xbbc4, v93
	v_add_f16_e32 v98, v68, v71
	v_fma_f16 v81, v76, 0xbbc4, -v96
	v_add_f16_e32 v19, v78, v19
	v_add_f16_e32 v58, v79, v58
	;; [unrolled: 1-line block ×3, first 2 shown]
	v_fmamk_f16 v80, v77, 0xb3a8, v103
	v_sub_f16_e32 v88, v71, v68
	v_mul_f16_e32 v109, 0x3b7b, v87
	v_mul_f16_e32 v114, 0xb5ac, v93
	v_sub_f16_e32 v79, v28, v31
	v_mul_f16_e32 v105, 0xb9fd, v98
	v_add_f16_e32 v18, v81, v18
	v_add_f16_e32 v78, v31, v28
	v_mul_f16_e32 v101, 0x394e, v88
	v_fma_f16 v81, v76, 0xb5ac, -v109
	v_fmamk_f16 v84, v77, 0x3b7b, v114
	v_add_f16_e32 v19, v80, v19
	v_fmamk_f16 v80, v79, 0x394e, v105
	v_mul_f16_e32 v112, 0x3770, v88
	v_sub_f16_e32 v91, v65, v70
	v_fma_f16 v85, v78, 0xb9fd, -v101
	v_add_f16_e32 v58, v81, v58
	v_add_f16_e32 v59, v84, v59
	;; [unrolled: 1-line block ×4, first 2 shown]
	v_fma_f16 v84, v78, 0x3b15, -v112
	v_add_f16_e32 v80, v30, v29
	v_mul_f16_e32 v104, 0x3bf1, v91
	v_mul_f16_e32 v115, 0xba95, v91
	v_add_f16_e32 v18, v85, v18
	v_mul_f16_e32 v116, 0x3b15, v98
	v_sub_f16_e32 v81, v29, v30
	v_mul_f16_e32 v110, 0x2fb7, v99
	v_fma_f16 v95, v80, 0x2fb7, -v104
	v_add_f16_e32 v58, v84, v58
	v_fma_f16 v97, v80, 0x388b, -v115
	v_fmamk_f16 v85, v79, 0x3770, v116
	v_fmamk_f16 v84, v81, 0x3bf1, v110
	v_add_f16_e32 v18, v95, v18
	v_mul_f16_e32 v118, 0x388b, v99
	v_add_f16_e32 v121, v97, v58
	v_sub_f16_e32 v95, v63, v60
	v_add_f16_e32 v97, v60, v63
	v_add_f16_e32 v59, v85, v59
	;; [unrolled: 1-line block ×3, first 2 shown]
	v_fmamk_f16 v19, v81, 0xba95, v118
	v_add_f16_e32 v84, v23, v22
	v_sub_f16_e32 v85, v22, v23
	v_mul_f16_e32 v108, 0x3770, v95
	v_mul_f16_e32 v113, 0x3b15, v97
	;; [unrolled: 1-line block ×4, first 2 shown]
	v_add_f16_e32 v59, v19, v59
	v_fma_f16 v19, v84, 0x3b15, -v108
	v_fmamk_f16 v58, v85, 0x3770, v113
	v_fma_f16 v122, v84, 0xb9fd, -v117
	v_fmamk_f16 v123, v85, 0xb94e, v119
	global_wb scope:SCOPE_SE
	v_add_f16_e32 v19, v19, v18
	v_add_f16_e32 v58, v58, v120
	;; [unrolled: 1-line block ×4, first 2 shown]
	s_barrier_signal -1
	s_barrier_wait -1
	global_inv scope:SCOPE_SE
	s_and_saveexec_b32 s1, vcc_lo
	s_cbranch_execz .LBB0_17
; %bb.16:
	v_mul_f16_e32 v126, 0xbb7b, v74
	v_mul_f16_e64 v140, 0xbb7b, v82
	v_mul_f16_e64 v132, 0x394e, v75
	;; [unrolled: 1-line block ×4, first 2 shown]
	v_fma_f16 v131, 0xb5ac, v86, v126
	v_fma_f16 v143, v72, 0xb5ac, -v140
	v_fma_f16 v136, 0xb9fd, v89, v132
	v_fma_f16 v146, v73, 0xb9fd, -v144
	v_mul_f16_e64 v147, 0x3770, v87
	v_add_f16_e64 v131, v64, v131
	v_add_f16_e64 v143, v20, v143
	v_mul_f16_e64 v141, 0xbbf1, v79
	v_mul_f16_e64 v149, 0xbbf1, v88
	;; [unrolled: 1-line block ×3, first 2 shown]
	v_add_f16_e64 v131, v136, v131
	v_fma_f16 v136, 0x3b15, v93, v137
	v_add_f16_e64 v143, v146, v143
	v_fma_f16 v146, v76, 0x3b15, -v147
	v_mul_f16_e64 v151, 0x33a8, v91
	v_mul_f16_e64 v156, 0xb94e, v82
	v_add_f16_e64 v131, v136, v131
	v_fma_f16 v136, 0x2fb7, v98, v141
	v_add_f16_e64 v143, v146, v143
	v_fma_f16 v146, v78, 0x2fb7, -v149
	v_mul_f16_e64 v150, 0xb94e, v74
	v_fma_f16 v159, v72, 0xb9fd, -v156
	v_add_f16_e64 v131, v136, v131
	v_fma_f16 v136, 0xbbc4, v99, v145
	v_add_f16_e64 v143, v146, v143
	v_fma_f16 v146, v80, 0xbbc4, -v151
	v_mul_f16_e64 v160, 0x3bf1, v83
	v_fma_f16 v153, 0xb9fd, v86, v150
	v_add_f16_e64 v131, v136, v131
	v_mul_f16_e64 v136, 0x3a95, v85
	v_add_f16_e64 v143, v146, v143
	v_mul_f16_e64 v146, 0x3a95, v95
	v_mul_f16_e64 v154, 0x3bf1, v75
	v_add_f16_e64 v159, v20, v159
	v_fma_f16 v152, 0x388b, v97, v136
	v_fma_f16 v162, v73, 0x2fb7, -v160
	v_fma_f16 v158, v84, 0x388b, -v146
	v_mul_f16_e64 v163, 0xba95, v87
	v_mul_f16_e64 v155, 0xba95, v77
	v_add_f16_e64 v131, v152, v131
	v_add_f16_e64 v152, v64, v153
	v_fma_f16 v153, 0x2fb7, v89, v154
	v_add_f16_e64 v143, v158, v143
	v_add_f16_e64 v158, v162, v159
	v_fma_f16 v159, v76, 0x388b, -v163
	v_mul_f16_e64 v162, 0x33a8, v88
	v_mul_f16_e32 v121, 0xba95, v74
	v_add_f16_e64 v152, v153, v152
	v_fma_f16 v153, 0x388b, v93, v155
	v_mul_f16_e64 v157, 0x33a8, v79
	v_add_f16_e64 v158, v159, v158
	v_fma_f16 v159, v78, 0xbbc4, -v162
	v_mul_f16_e64 v165, 0x3770, v91
	v_mul_f16_e32 v125, 0xbb7b, v75
	v_add_f16_e64 v152, v153, v152
	v_fma_f16 v153, 0xbbc4, v98, v157
	v_mul_f16_e64 v161, 0x3770, v81
	v_add_f16_e64 v158, v159, v158
	v_fma_f16 v159, v80, 0x3b15, -v165
	v_sub_f16_e32 v94, v94, v121
	v_mul_f16_e32 v120, 0x388b, v72
	v_mul_f16_e64 v130, 0xb3a8, v77
	v_add_f16_e64 v152, v153, v152
	v_fma_f16 v153, 0x3b15, v99, v161
	v_add_f16_e64 v158, v159, v158
	v_mul_f16_e64 v159, 0xb3a8, v82
	v_mul_f16_e64 v171, 0xbb7b, v95
	v_add_f16_e32 v94, v64, v94
	v_sub_f16_e32 v100, v100, v125
	v_mul_f16_e32 v124, 0xb5ac, v73
	v_mul_f16_e64 v138, 0x394e, v79
	v_add_f16_e64 v152, v153, v152
	v_mul_f16_e64 v153, 0xb3a8, v74
	v_fma_f16 v172, v72, 0xbbc4, -v159
	v_mul_f16_e64 v173, 0x3770, v83
	v_fma_f16 v179, v84, 0xb5ac, -v171
	v_fmac_f16_e64 v159, 0xbbc4, v72
	v_add_f16_e32 v94, v100, v94
	v_sub_f16_e64 v100, v103, v130
	v_add_f16_e32 v90, v120, v90
	v_mul_f16_e64 v129, 0xbbc4, v76
	v_mul_f16_e64 v164, 0xbb7b, v85
	v_fma_f16 v166, 0xbbc4, v86, v153
	v_mul_f16_e64 v167, 0x3770, v75
	v_fma_f16 v175, v73, 0x3b15, -v173
	v_add_f16_e64 v158, v179, v158
	v_fma_f16 v153, v86, 0xbbc4, -v153
	v_mul_f16_e64 v179, 0x3bf1, v81
	v_add_f16_e64 v159, v20, v159
	v_fmac_f16_e64 v173, 0x3b15, v73
	v_fma_f16 v150, v86, 0xb9fd, -v150
	v_fma_f16 v126, v86, 0xb5ac, -v126
	v_add_f16_e32 v94, v100, v94
	v_sub_f16_e64 v100, v105, v138
	v_add_f16_e32 v90, v20, v90
	v_add_f16_e32 v92, v124, v92
	v_mul_f16_e32 v86, 0x3b15, v86
	v_mul_f16_e64 v135, 0xb9fd, v78
	v_fma_f16 v168, 0xb5ac, v97, v164
	v_add_f16_e64 v166, v64, v166
	v_fma_f16 v169, 0x3b15, v89, v167
	v_mul_f16_e64 v170, 0xb94e, v77
	v_add_f16_e64 v153, v64, v153
	v_fma_f16 v167, v89, 0x3b15, -v167
	v_add_f16_e64 v159, v173, v159
	v_mul_f16_e64 v173, 0x3770, v85
	v_add_f16_e64 v150, v64, v150
	v_fma_f16 v154, v89, 0x2fb7, -v154
	v_add_f16_e32 v126, v64, v126
	v_fma_f16 v132, v89, 0xb9fd, -v132
	v_add_f16_e32 v94, v100, v94
	v_sub_f16_e64 v100, v110, v179
	v_add_f16_e32 v90, v92, v90
	v_add_f16_e64 v92, v129, v96
	v_fmamk_f16 v96, v74, 0x3770, v86
	v_mul_f16_e32 v89, 0x388b, v89
	v_mul_f16_e64 v148, 0x2fb7, v80
	v_add_f16_e64 v152, v168, v152
	v_add_f16_e64 v166, v169, v166
	v_fma_f16 v168, 0xb9fd, v93, v170
	v_mul_f16_e64 v169, 0x3a95, v79
	v_add_f16_e64 v153, v167, v153
	v_fma_f16 v170, v93, 0xb9fd, -v170
	v_add_f16_e64 v150, v154, v150
	v_fma_f16 v154, v93, 0x388b, -v155
	;; [unrolled: 2-line block ×3, first 2 shown]
	v_add_f16_e32 v94, v100, v94
	v_sub_f16_e64 v100, v113, v173
	v_add_f16_e32 v90, v92, v90
	v_add_f16_e64 v92, v135, v101
	v_add_f16_e32 v96, v64, v96
	v_fmamk_f16 v101, v75, 0x3a95, v89
	v_mul_f16_e32 v93, 0x2fb7, v93
	v_add_f16_e64 v166, v168, v166
	v_fma_f16 v168, 0x388b, v98, v169
	v_add_f16_e64 v153, v170, v153
	v_mul_f16_e64 v170, 0x3b15, v84
	v_fma_f16 v169, v98, 0x388b, -v169
	v_add_f16_e64 v150, v154, v150
	v_fma_f16 v154, v98, 0xbbc4, -v157
	v_add_f16_e64 v126, v132, v126
	v_fma_f16 v132, v98, 0x2fb7, -v141
	v_add_f16_e32 v94, v100, v94
	v_add_f16_e32 v90, v92, v90
	v_add_f16_e64 v92, v148, v104
	v_add_f16_e32 v96, v101, v96
	v_fmamk_f16 v100, v77, 0x3bf1, v93
	v_mul_f16_e32 v98, 0xb5ac, v98
	v_mul_f16_e32 v82, 0xb770, v82
	v_mul_f16_e64 v174, 0xbb7b, v81
	v_add_f16_e32 v90, v92, v90
	v_add_f16_e64 v92, v170, v108
	v_add_f16_e32 v96, v100, v96
	v_fmamk_f16 v100, v79, 0x3b7b, v98
	v_fmamk_f16 v101, v72, 0x3b15, v82
	v_mul_f16_e32 v83, 0xba95, v83
	v_add_f16_e32 v21, v21, v20
	v_add_f16_e32 v69, v69, v64
	v_mul_f16_e64 v176, 0xb94e, v87
	v_add_f16_e64 v166, v168, v166
	v_fma_f16 v168, 0xb5ac, v99, v174
	v_fma_f16 v174, v99, 0xb5ac, -v174
	v_add_f16_e64 v150, v154, v150
	v_fma_f16 v154, v99, 0x3b15, -v161
	v_add_f16_e64 v126, v132, v126
	v_fma_f16 v132, v99, 0xbbc4, -v145
	v_add_f16_e32 v90, v92, v90
	v_mul_f16_e32 v92, 0xb9fd, v99
	v_add_f16_e32 v96, v100, v96
	v_add_f16_e32 v99, v20, v101
	v_fmamk_f16 v100, v73, 0x388b, v83
	v_mul_f16_e32 v87, 0xbbf1, v87
	v_add_f16_e32 v21, v24, v21
	v_add_f16_e32 v24, v67, v69
	v_mul_f16_e64 v178, 0x3a95, v88
	v_fmamk_f16 v101, v81, 0x394e, v92
	v_add_f16_e32 v99, v100, v99
	v_fmamk_f16 v100, v76, 0x2fb7, v87
	v_mul_f16_e32 v88, 0xbb7b, v88
	v_add_f16_e32 v21, v25, v21
	v_add_f16_e32 v24, v61, v24
	;; [unrolled: 1-line block ×4, first 2 shown]
	v_fmamk_f16 v96, v78, 0xb5ac, v88
	v_mul_f16_e32 v25, 0xb94e, v91
	v_add_f16_e32 v21, v28, v21
	v_add_f16_e32 v24, v71, v24
	v_add_f16_e64 v172, v20, v172
	v_add_f16_e32 v69, v96, v69
	v_fmamk_f16 v28, v80, 0xb9fd, v25
	v_mul_f16_e32 v71, 0xb3a8, v95
	v_add_f16_e32 v21, v29, v21
	v_add_f16_e32 v24, v65, v24
	v_mul_f16_e32 v122, 0x2fb7, v72
	v_mul_f16_e32 v123, 0xbbf1, v74
	v_mul_f16_e64 v177, 0x3bf1, v85
	v_add_f16_e64 v172, v175, v172
	v_fma_f16 v175, v76, 0xb9fd, -v176
	v_add_f16_e32 v28, v28, v69
	v_fmamk_f16 v29, v84, 0xbbc4, v71
	v_add_f16_e32 v21, v22, v21
	v_add_f16_e32 v22, v63, v24
	v_mul_f16_e32 v127, 0xbbc4, v73
	v_mul_f16_e64 v128, 0xb3a8, v75
	v_add_f16_e64 v166, v168, v166
	v_fma_f16 v168, 0x2fb7, v97, v177
	v_add_f16_e64 v172, v175, v172
	v_fma_f16 v175, v78, 0x388b, -v178
	v_mul_f16_e64 v180, 0xbb7b, v91
	v_sub_f16_e32 v106, v106, v123
	v_add_f16_e32 v102, v122, v102
	v_fmac_f16_e64 v156, 0xb9fd, v72
	v_fmac_f16_e64 v140, 0xb5ac, v72
	v_fmac_f16_e32 v86, 0xb770, v74
	v_add_f16_e32 v24, v29, v28
	v_fma_f16 v28, v72, 0x3b15, -v82
	v_add_f16_e32 v21, v23, v21
	v_add_f16_e32 v22, v60, v22
	v_mul_f16_e64 v133, 0xb5ac, v76
	v_mul_f16_e64 v134, 0x3b7b, v77
	v_add_f16_e64 v166, v168, v166
	v_add_f16_e64 v168, v175, v172
	v_fma_f16 v172, v80, 0xb5ac, -v180
	v_mul_f16_e64 v175, 0x3bf1, v95
	v_add_f16_e32 v106, v64, v106
	v_sub_f16_e64 v111, v111, v128
	v_add_f16_e32 v102, v20, v102
	v_add_f16_e32 v107, v127, v107
	v_add_f16_e64 v156, v20, v156
	v_fmac_f16_e64 v160, 0x2fb7, v73
	v_add_f16_e64 v140, v20, v140
	v_fmac_f16_e64 v144, 0xb9fd, v73
	v_add_f16_e32 v23, v64, v86
	v_fmac_f16_e32 v89, 0xba95, v75
	v_add_f16_e32 v20, v20, v28
	v_fma_f16 v28, v73, 0x388b, -v83
	v_add_f16_e32 v21, v30, v21
	v_add_f16_e32 v22, v70, v22
	v_mul_f16_e64 v139, 0x3b15, v78
	v_mul_f16_e64 v142, 0x3770, v79
	v_add_f16_e64 v168, v172, v168
	v_fma_f16 v172, v84, 0x2fb7, -v175
	v_add_f16_e32 v106, v111, v106
	v_sub_f16_e64 v111, v114, v134
	v_add_f16_e32 v102, v107, v102
	v_add_f16_e64 v107, v133, v109
	v_add_f16_e64 v156, v160, v156
	v_fmac_f16_e64 v163, 0x388b, v76
	v_add_f16_e64 v140, v144, v140
	v_fmac_f16_e64 v147, 0x3b15, v76
	v_fmac_f16_e64 v176, 0xb9fd, v76
	v_add_f16_e32 v23, v89, v23
	v_fmac_f16_e32 v93, 0xbbf1, v77
	v_add_f16_e32 v20, v28, v20
	v_fma_f16 v28, v76, 0x2fb7, -v87
	v_add_f16_e32 v21, v31, v21
	v_add_f16_e32 v22, v68, v22
	v_mul_f16_e64 v167, 0x388b, v80
	v_add_f16_e64 v168, v172, v168
	v_mul_f16_e64 v172, 0xba95, v81
	v_add_f16_e32 v106, v111, v106
	v_sub_f16_e64 v111, v116, v142
	v_add_f16_e32 v102, v107, v102
	v_add_f16_e64 v107, v139, v112
	v_add_f16_e64 v156, v163, v156
	v_fmac_f16_e64 v162, 0xbbc4, v78
	v_add_f16_e64 v123, v147, v140
	v_fmac_f16_e64 v149, 0x2fb7, v78
	;; [unrolled: 2-line block ×3, first 2 shown]
	v_mul_f16_e32 v61, 0xbbc4, v97
	v_add_f16_e32 v23, v93, v23
	v_fmac_f16_e32 v98, 0xbb7b, v79
	v_add_f16_e32 v20, v28, v20
	v_fma_f16 v28, v78, 0xb5ac, -v88
	v_add_f16_e32 v21, v26, v21
	v_add_f16_e32 v22, v66, v22
	v_add_f16_e64 v153, v169, v153
	v_mul_f16_e64 v169, 0xb9fd, v84
	v_mul_f16_e64 v176, 0xb94e, v85
	v_add_f16_e32 v106, v111, v106
	v_sub_f16_e64 v109, v118, v172
	v_add_f16_e32 v102, v107, v102
	v_add_f16_e64 v103, v167, v115
	v_add_f16_e64 v137, v162, v156
	v_fmac_f16_e64 v165, 0x3b15, v80
	v_add_f16_e64 v123, v149, v123
	v_fmac_f16_e64 v151, 0xbbc4, v80
	;; [unrolled: 2-line block ×3, first 2 shown]
	v_fmamk_f16 v91, v85, 0x33a8, v61
	v_add_f16_e32 v23, v98, v23
	v_fmac_f16_e32 v92, 0xb94e, v81
	v_add_f16_e32 v20, v28, v20
	v_fma_f16 v25, v80, 0xb9fd, -v25
	v_add_f16_e32 v21, v27, v21
	v_add_f16_e32 v22, v62, v22
	;; [unrolled: 1-line block ×3, first 2 shown]
	v_sub_f16_e64 v109, v119, v176
	v_add_f16_e32 v102, v103, v102
	v_add_f16_e64 v103, v169, v117
	v_add_f16_e64 v150, v154, v150
	v_fma_f16 v154, v97, 0xb5ac, -v164
	v_add_f16_e64 v137, v165, v137
	v_fmac_f16_e64 v171, 0xb5ac, v84
	v_add_f16_e64 v126, v132, v126
	v_fma_f16 v132, v97, 0x388b, -v136
	v_add_f16_e64 v114, v151, v123
	v_fmac_f16_e64 v146, 0x388b, v84
	;; [unrolled: 4-line block ×3, first 2 shown]
	v_add_f16_e32 v65, v91, v67
	v_add_f16_e32 v23, v92, v23
	v_fmac_f16_e32 v61, 0xb3a8, v85
	v_add_f16_e32 v20, v25, v20
	v_fma_f16 v25, v84, 0xbbc4, -v71
	v_and_b32_e32 v26, 0xffff, v35
	v_add_f16_e32 v21, v36, v21
	v_add_f16_e32 v22, v37, v22
	v_add_f16_e32 v106, v109, v106
	v_add_f16_e32 v102, v103, v102
	v_add_f16_e64 v150, v154, v150
	v_add_f16_e64 v137, v171, v137
	v_add_f16_e64 v126, v132, v126
	v_add_f16_e64 v114, v146, v114
	v_add_f16_e64 v153, v174, v153
	v_add_f16_e64 v155, v175, v155
	v_add_f16_e32 v23, v61, v23
	v_add_f16_e32 v20, v25, v20
	v_lshlrev_b32_e32 v25, 2, v26
	v_pack_b32_f16 v24, v24, v65
	v_pack_b32_f16 v21, v21, v22
	;; [unrolled: 1-line block ×10, first 2 shown]
	v_perm_b32 v36, v58, v19, 0x5040100
	v_perm_b32 v37, v59, v18, 0x5040100
	v_pack_b32_f16 v20, v20, v23
	ds_store_2addr_b32 v25, v21, v24 offset1:1
	ds_store_2addr_b32 v25, v26, v22 offset0:2 offset1:3
	ds_store_2addr_b32 v25, v28, v27 offset0:4 offset1:5
	;; [unrolled: 1-line block ×5, first 2 shown]
	ds_store_b32 v25, v20 offset:48
.LBB0_17:
	s_wait_alu 0xfffe
	s_or_b32 exec_lo, exec_lo, s1
	global_wb scope:SCOPE_SE
	s_wait_dscnt 0x0
	s_barrier_signal -1
	s_barrier_wait -1
	global_inv scope:SCOPE_SE
	ds_load_2addr_b32 v[20:21], v33 offset1:52
	ds_load_2addr_b32 v[23:24], v33 offset0:104 offset1:156
	v_add_nc_u32_e32 v25, 0x200, v33
	v_add_nc_u32_e32 v22, 0x400, v33
	ds_load_2addr_b32 v[25:26], v25 offset0:80 offset1:132
	ds_load_2addr_b32 v[27:28], v22 offset0:56 offset1:108
	;; [unrolled: 1-line block ×3, first 2 shown]
	global_wb scope:SCOPE_SE
	s_wait_dscnt 0x0
	s_barrier_signal -1
	s_barrier_wait -1
	global_inv scope:SCOPE_SE
	v_lshrrev_b32_e32 v35, 16, v21
	v_lshrrev_b32_e32 v36, 16, v23
	v_mul_f16_e32 v60, v56, v21
	v_mul_f16_e32 v61, v57, v23
	v_lshrrev_b32_e32 v37, 16, v24
	v_lshrrev_b32_e32 v63, 16, v25
	v_mul_f16_e32 v56, v56, v35
	v_mul_f16_e32 v57, v57, v36
	v_lshrrev_b32_e32 v64, 16, v26
	v_lshrrev_b32_e32 v65, 16, v27
	v_fma_f16 v35, v4, v35, -v60
	v_fma_f16 v36, v5, v36, -v61
	v_fmac_f16_e32 v56, v4, v21
	v_fmac_f16_e32 v57, v5, v23
	v_mul_f16_e32 v4, v54, v63
	v_mul_f16_e32 v5, v54, v25
	;; [unrolled: 1-line block ×3, first 2 shown]
	v_lshrrev_b32_e32 v67, 16, v29
	v_mul_f16_e32 v55, v55, v37
	v_mul_f16_e32 v21, v53, v64
	v_fmac_f16_e32 v4, v7, v25
	v_fma_f16 v5, v7, v63, -v5
	v_mul_f16_e32 v7, v53, v26
	v_mul_f16_e32 v23, v52, v65
	v_lshrrev_b32_e32 v66, 16, v28
	v_fmac_f16_e32 v55, v6, v24
	v_fmac_f16_e32 v21, v0, v26
	v_mul_f16_e32 v24, v52, v27
	v_fma_f16 v0, v0, v64, -v7
	v_fmac_f16_e32 v23, v1, v27
	v_mul_f16_e32 v7, v50, v29
	v_mul_f16_e32 v27, v50, v67
	v_lshrrev_b32_e32 v68, 16, v30
	v_mul_f16_e32 v25, v51, v66
	v_add_f16_e32 v26, v4, v23
	v_fma_f16 v7, v3, v67, -v7
	v_fmac_f16_e32 v27, v3, v29
	v_lshrrev_b32_e32 v31, 16, v20
	v_fma_f16 v6, v6, v37, -v62
	v_fma_f16 v1, v1, v65, -v24
	v_fmac_f16_e32 v25, v2, v28
	v_mul_f16_e32 v24, v51, v28
	v_mul_f16_e32 v28, v49, v68
	v_add_f16_e32 v37, v20, v57
	v_fma_f16 v26, -0.5, v26, v20
	v_sub_f16_e32 v50, v36, v7
	v_add_f16_e32 v52, v57, v27
	v_fma_f16 v2, v2, v66, -v24
	v_fmac_f16_e32 v28, v39, v30
	v_add_f16_e32 v3, v37, v4
	v_fmamk_f16 v24, v50, 0xbb9c, v26
	v_sub_f16_e32 v29, v5, v1
	v_sub_f16_e32 v37, v57, v4
	;; [unrolled: 1-line block ×3, first 2 shown]
	v_mul_f16_e32 v30, v49, v30
	v_fmac_f16_e32 v20, -0.5, v52
	v_fmac_f16_e32 v26, 0x3b9c, v50
	v_add_f16_e32 v52, v31, v36
	v_add_f16_e32 v3, v3, v23
	v_fmac_f16_e32 v24, 0xb8b4, v29
	v_add_f16_e32 v37, v37, v51
	v_fma_f16 v30, v39, v68, -v30
	v_fmamk_f16 v39, v29, 0x3b9c, v20
	v_sub_f16_e32 v49, v4, v57
	v_sub_f16_e32 v51, v23, v27
	v_fmac_f16_e32 v26, 0x38b4, v29
	v_add_f16_e32 v53, v5, v1
	v_fmac_f16_e32 v20, 0xbb9c, v29
	v_add_f16_e32 v29, v52, v5
	v_add_f16_e32 v3, v3, v27
	v_fmac_f16_e32 v39, 0xb8b4, v50
	v_add_f16_e32 v49, v49, v51
	v_fma_f16 v51, -0.5, v53, v31
	v_sub_f16_e32 v27, v57, v27
	v_fmac_f16_e32 v20, 0x38b4, v50
	v_add_f16_e32 v29, v29, v1
	v_add_f16_e32 v50, v36, v7
	v_fmac_f16_e32 v24, 0x34f2, v37
	v_fmac_f16_e32 v26, 0x34f2, v37
	v_fmamk_f16 v37, v27, 0x3b9c, v51
	v_sub_f16_e32 v4, v4, v23
	v_sub_f16_e32 v52, v7, v1
	v_fmac_f16_e32 v31, -0.5, v50
	v_add_f16_e32 v29, v29, v7
	v_fmac_f16_e32 v51, 0xbb9c, v27
	v_sub_f16_e32 v1, v1, v7
	v_add_f16_e32 v7, v56, v55
	v_sub_f16_e32 v23, v36, v5
	v_sub_f16_e32 v5, v5, v36
	v_fmac_f16_e32 v39, 0x34f2, v49
	v_fmac_f16_e32 v20, 0x34f2, v49
	;; [unrolled: 1-line block ×3, first 2 shown]
	v_fmamk_f16 v49, v4, 0xbb9c, v31
	v_fmac_f16_e32 v51, 0xb8b4, v4
	v_fmac_f16_e32 v31, 0x3b9c, v4
	v_add_f16_e32 v4, v7, v21
	v_add_f16_e32 v23, v23, v52
	;; [unrolled: 1-line block ×4, first 2 shown]
	v_fmac_f16_e32 v49, 0x38b4, v27
	v_fmac_f16_e32 v31, 0xb8b4, v27
	v_add_f16_e32 v4, v4, v25
	v_add_f16_e32 v7, v55, v28
	v_fmac_f16_e32 v37, 0x34f2, v23
	v_fmac_f16_e32 v51, 0x34f2, v23
	v_fma_f16 v5, -0.5, v5, v56
	v_sub_f16_e32 v23, v6, v30
	v_fmac_f16_e32 v49, 0x34f2, v1
	v_fmac_f16_e32 v31, 0x34f2, v1
	v_add_f16_e32 v1, v4, v28
	v_sub_f16_e32 v4, v0, v2
	v_fmac_f16_e32 v56, -0.5, v7
	v_fmamk_f16 v7, v23, 0xbb9c, v5
	v_sub_f16_e32 v27, v55, v21
	v_sub_f16_e32 v36, v28, v25
	v_fmac_f16_e32 v5, 0x3b9c, v23
	v_fmamk_f16 v50, v4, 0x3b9c, v56
	v_fmac_f16_e32 v56, 0xbb9c, v4
	v_sub_f16_e32 v52, v21, v55
	v_sub_f16_e32 v53, v25, v28
	v_fmac_f16_e32 v7, 0xb8b4, v4
	v_add_f16_e32 v27, v27, v36
	v_fmac_f16_e32 v5, 0x38b4, v4
	v_add_f16_e32 v4, v0, v2
	v_fmac_f16_e32 v50, 0xb8b4, v23
	v_fmac_f16_e32 v56, 0x38b4, v23
	v_add_f16_e32 v23, v6, v30
	v_add_f16_e32 v36, v52, v53
	v_fmac_f16_e32 v7, 0x34f2, v27
	v_fmac_f16_e32 v5, 0x34f2, v27
	v_fma_f16 v4, -0.5, v4, v35
	v_sub_f16_e32 v27, v55, v28
	v_add_f16_e32 v28, v35, v6
	v_sub_f16_e32 v21, v21, v25
	v_fmac_f16_e32 v35, -0.5, v23
	v_fmac_f16_e32 v50, 0x34f2, v36
	v_fmac_f16_e32 v56, 0x34f2, v36
	v_fmamk_f16 v23, v27, 0x3b9c, v4
	v_sub_f16_e32 v25, v6, v0
	v_sub_f16_e32 v36, v30, v2
	v_fmamk_f16 v52, v21, 0xbb9c, v35
	v_sub_f16_e32 v6, v0, v6
	v_sub_f16_e32 v53, v2, v30
	v_fmac_f16_e32 v35, 0x3b9c, v21
	v_fmac_f16_e32 v4, 0xbb9c, v27
	;; [unrolled: 1-line block ×3, first 2 shown]
	v_add_f16_e32 v25, v25, v36
	v_fmac_f16_e32 v52, 0x38b4, v27
	v_add_f16_e32 v6, v6, v53
	v_fmac_f16_e32 v35, 0xb8b4, v27
	v_fmac_f16_e32 v4, 0xb8b4, v21
	v_add_f16_e32 v0, v28, v0
	v_fmac_f16_e32 v23, 0x34f2, v25
	v_fmac_f16_e32 v52, 0x34f2, v6
	;; [unrolled: 1-line block ×4, first 2 shown]
	v_add_f16_e32 v0, v0, v2
	v_mul_f16_e32 v2, 0xb8b4, v23
	v_mul_f16_e32 v23, 0x3a79, v23
	;; [unrolled: 1-line block ×8, first 2 shown]
	v_add_f16_e32 v25, v0, v30
	v_fmac_f16_e32 v2, 0x3a79, v7
	v_fmac_f16_e32 v23, 0x38b4, v7
	;; [unrolled: 1-line block ×8, first 2 shown]
	v_add_f16_e32 v28, v3, v1
	v_add_f16_e32 v30, v24, v2
	v_add_f16_e32 v5, v29, v25
	v_add_f16_e32 v7, v37, v23
	v_add_f16_e32 v36, v39, v6
	v_add_f16_e32 v53, v20, v21
	v_add_f16_e32 v50, v49, v52
	v_add_f16_e32 v55, v31, v35
	v_add_f16_e32 v54, v26, v27
	v_add_f16_e32 v56, v51, v4
	v_sub_f16_e32 v3, v3, v1
	v_sub_f16_e32 v0, v20, v21
	;; [unrolled: 1-line block ×10, first 2 shown]
	v_pack_b32_f16 v4, v28, v5
	v_pack_b32_f16 v5, v30, v7
	;; [unrolled: 1-line block ×10, first 2 shown]
	ds_store_2addr_b32 v38, v4, v5 offset1:13
	ds_store_2addr_b32 v38, v7, v26 offset0:26 offset1:39
	ds_store_2addr_b32 v38, v27, v3 offset0:52 offset1:65
	;; [unrolled: 1-line block ×4, first 2 shown]
	global_wb scope:SCOPE_SE
	s_wait_dscnt 0x0
	s_barrier_signal -1
	s_barrier_wait -1
	global_inv scope:SCOPE_SE
	ds_load_2addr_b32 v[2:3], v33 offset1:52
	ds_load_2addr_b32 v[20:21], v33 offset0:130 offset1:182
	ds_load_2addr_b32 v[6:7], v22 offset0:4 offset1:56
	;; [unrolled: 1-line block ×3, first 2 shown]
	s_and_saveexec_b32 s1, s0
	s_cbranch_execz .LBB0_19
; %bb.18:
	ds_load_2addr_b32 v[0:1], v33 offset0:104 offset1:234
	ds_load_2addr_b32 v[18:19], v22 offset0:108 offset1:238
	s_wait_dscnt 0x1
	v_lshrrev_b32_e32 v23, 16, v0
	v_lshrrev_b32_e32 v24, 16, v1
	s_wait_dscnt 0x0
	v_lshrrev_b32_e32 v59, 16, v18
	v_lshrrev_b32_e32 v58, 16, v19
.LBB0_19:
	s_wait_alu 0xfffe
	s_or_b32 exec_lo, exec_lo, s1
	s_wait_dscnt 0x1
	v_lshrrev_b32_e32 v27, 16, v6
	v_lshrrev_b32_e32 v26, 16, v20
	s_wait_dscnt 0x0
	v_lshrrev_b32_e32 v28, 16, v4
	v_lshrrev_b32_e32 v30, 16, v21
	;; [unrolled: 1-line block ×3, first 2 shown]
	v_mul_f16_e32 v37, v47, v27
	v_mul_f16_e32 v35, v48, v26
	;; [unrolled: 1-line block ×4, first 2 shown]
	v_lshrrev_b32_e32 v38, 16, v5
	v_fmac_f16_e32 v37, v15, v6
	v_mul_f16_e32 v6, v46, v28
	v_fmac_f16_e32 v35, v14, v20
	v_fma_f16 v14, v14, v26, -v36
	v_fma_f16 v15, v15, v27, -v39
	v_mul_f16_e32 v20, v46, v4
	v_mul_f16_e32 v26, v45, v30
	;; [unrolled: 1-line block ×3, first 2 shown]
	v_fmac_f16_e32 v6, v16, v4
	v_mul_f16_e32 v4, v44, v31
	v_lshrrev_b32_e32 v25, 16, v2
	v_fma_f16 v16, v16, v28, -v20
	v_fmac_f16_e32 v26, v11, v21
	v_fma_f16 v11, v11, v30, -v27
	v_fmac_f16_e32 v4, v12, v7
	v_mul_f16_e32 v7, v44, v7
	v_mul_f16_e32 v27, v43, v38
	;; [unrolled: 1-line block ×3, first 2 shown]
	v_lshrrev_b32_e32 v29, 16, v3
	v_sub_f16_e32 v15, v25, v15
	v_sub_f16_e32 v16, v14, v16
	v_fma_f16 v7, v12, v31, -v7
	v_fmac_f16_e32 v27, v13, v5
	v_fma_f16 v5, v13, v38, -v28
	v_sub_f16_e32 v20, v2, v37
	v_sub_f16_e32 v6, v35, v6
	v_fma_f16 v25, v25, 2.0, -v15
	v_fma_f16 v14, v14, 2.0, -v16
	v_sub_f16_e32 v4, v3, v4
	v_sub_f16_e32 v7, v29, v7
	;; [unrolled: 1-line block ×4, first 2 shown]
	v_fma_f16 v2, v2, 2.0, -v20
	v_fma_f16 v21, v35, 2.0, -v6
	v_sub_f16_e32 v12, v25, v14
	v_add_f16_e32 v14, v20, v16
	v_fma_f16 v3, v3, 2.0, -v4
	v_fma_f16 v16, v29, 2.0, -v7
	;; [unrolled: 1-line block ×4, first 2 shown]
	v_sub_f16_e32 v21, v2, v21
	v_sub_f16_e32 v6, v15, v6
	v_add_f16_e32 v5, v4, v5
	v_sub_f16_e32 v26, v3, v26
	v_sub_f16_e32 v11, v16, v11
	;; [unrolled: 1-line block ×3, first 2 shown]
	v_fma_f16 v2, v2, 2.0, -v21
	v_fma_f16 v25, v25, 2.0, -v12
	;; [unrolled: 1-line block ×8, first 2 shown]
	v_pack_b32_f16 v2, v2, v25
	v_pack_b32_f16 v3, v3, v16
	;; [unrolled: 1-line block ×8, first 2 shown]
	ds_store_2addr_b32 v33, v2, v3 offset1:52
	ds_store_2addr_b32 v33, v15, v4 offset0:130 offset1:182
	ds_store_2addr_b32 v22, v12, v7 offset0:4 offset1:56
	;; [unrolled: 1-line block ×3, first 2 shown]
	s_and_saveexec_b32 s1, s0
	s_cbranch_execz .LBB0_21
; %bb.20:
	v_mul_f16_e32 v2, v42, v59
	v_mul_f16_e32 v3, v41, v1
	;; [unrolled: 1-line block ×6, first 2 shown]
	v_fmac_f16_e32 v2, v9, v18
	v_fma_f16 v3, v8, v24, -v3
	v_fmac_f16_e32 v5, v8, v1
	v_fmac_f16_e32 v6, v10, v19
	v_fma_f16 v1, v9, v59, -v4
	v_fma_f16 v4, v10, v58, -v7
	v_sub_f16_e32 v2, v0, v2
	s_delay_alu instid0(VALU_DEP_4) | instskip(NEXT) | instid1(VALU_DEP_4)
	v_sub_f16_e32 v6, v5, v6
	v_sub_f16_e32 v1, v23, v1
	s_delay_alu instid0(VALU_DEP_4) | instskip(NEXT) | instid1(VALU_DEP_4)
	v_sub_f16_e32 v4, v3, v4
	v_fma_f16 v0, v0, 2.0, -v2
	s_delay_alu instid0(VALU_DEP_4) | instskip(NEXT) | instid1(VALU_DEP_4)
	v_fma_f16 v5, v5, 2.0, -v6
	v_fma_f16 v7, v23, 2.0, -v1
	s_delay_alu instid0(VALU_DEP_4) | instskip(SKIP_3) | instid1(VALU_DEP_4)
	v_fma_f16 v3, v3, 2.0, -v4
	v_add_f16_e32 v4, v2, v4
	v_sub_f16_e32 v6, v1, v6
	v_sub_f16_e32 v5, v0, v5
	v_sub_f16_e32 v3, v7, v3
	s_delay_alu instid0(VALU_DEP_4) | instskip(NEXT) | instid1(VALU_DEP_4)
	v_fma_f16 v2, v2, 2.0, -v4
	v_fma_f16 v1, v1, 2.0, -v6
	s_delay_alu instid0(VALU_DEP_4)
	v_fma_f16 v0, v0, 2.0, -v5
	v_pack_b32_f16 v4, v4, v6
	v_fma_f16 v7, v7, 2.0, -v3
	v_pack_b32_f16 v3, v5, v3
	v_pack_b32_f16 v1, v2, v1
	v_add_nc_u32_e32 v2, 0x400, v33
	s_delay_alu instid0(VALU_DEP_4)
	v_pack_b32_f16 v0, v0, v7
	ds_store_2addr_b32 v33, v0, v1 offset0:104 offset1:234
	ds_store_2addr_b32 v2, v3, v4 offset0:108 offset1:238
.LBB0_21:
	s_wait_alu 0xfffe
	s_or_b32 exec_lo, exec_lo, s1
	global_wb scope:SCOPE_SE
	s_wait_dscnt 0x0
	s_barrier_signal -1
	s_barrier_wait -1
	global_inv scope:SCOPE_SE
	s_and_b32 exec_lo, exec_lo, vcc_lo
	s_cbranch_execz .LBB0_23
; %bb.22:
	s_clause 0x6
	global_load_b32 v2, v33, s[24:25]
	global_load_b32 v3, v33, s[24:25] offset:160
	global_load_b32 v4, v33, s[24:25] offset:320
	;; [unrolled: 1-line block ×6, first 2 shown]
	v_mad_co_u64_u32 v[20:21], null, s20, v34, 0
	ds_load_b32 v27, v33
	v_mad_co_u64_u32 v[7:8], null, s22, v17, 0
	v_add_nc_u32_e32 v10, 0x400, v33
	ds_load_2addr_b32 v[15:16], v33 offset0:40 offset1:80
	ds_load_2addr_b32 v[18:19], v33 offset0:120 offset1:160
	v_mov_b32_e32 v9, v21
	ds_load_2addr_b32 v[22:23], v33 offset0:200 offset1:240
	s_mov_b32 s28, 0x1f81f820
	s_mov_b32 s29, 0x3f5f81f8
	s_mul_u64 s[26:27], s[20:21], 0xa0
	v_mad_co_u64_u32 v[24:25], null, s23, v17, v[8:9]
	v_mad_co_u64_u32 v[25:26], null, s21, v34, v[9:10]
	s_clause 0x3
	global_load_b32 v12, v33, s[24:25] offset:1120
	global_load_b32 v13, v33, s[24:25] offset:1280
	;; [unrolled: 1-line block ×4, first 2 shown]
	ds_load_2addr_b32 v[0:1], v10 offset0:24 offset1:64
	v_mov_b32_e32 v8, v24
	s_wait_dscnt 0x4
	v_lshrrev_b32_e32 v9, 16, v27
	v_mov_b32_e32 v21, v25
	s_wait_dscnt 0x3
	v_lshrrev_b32_e32 v17, 16, v15
	v_lshrrev_b32_e32 v28, 16, v16
	s_wait_dscnt 0x2
	v_lshrrev_b32_e32 v31, 16, v18
	v_lshrrev_b32_e32 v34, 16, v19
	s_wait_dscnt 0x1
	v_lshrrev_b32_e32 v35, 16, v22
	v_lshlrev_b64_e32 v[7:8], 2, v[7:8]
	v_lshrrev_b32_e32 v49, 16, v23
	s_wait_loadcnt 0xa
	v_lshrrev_b32_e32 v24, 16, v2
	s_wait_loadcnt 0x9
	;; [unrolled: 2-line block ×5, first 2 shown]
	v_lshrrev_b32_e32 v37, 16, v6
	v_mul_f16_e32 v26, v9, v24
	v_mul_f16_e32 v24, v27, v24
	;; [unrolled: 1-line block ×5, first 2 shown]
	v_fmac_f16_e32 v26, v27, v2
	v_mul_f16_e32 v27, v17, v25
	v_fma_f16 v2, v2, v9, -v24
	v_fma_f16 v17, v3, v17, -v39
	v_mul_f16_e32 v9, v16, v29
	v_cvt_f32_f16_e32 v25, v26
	v_fmac_f16_e32 v27, v15, v3
	v_cvt_f32_f16_e32 v2, v2
	v_fmac_f16_e32 v40, v16, v4
	v_cvt_f32_f16_e32 v16, v17
	v_cvt_f64_f32_e32 v[24:25], v25
	v_cvt_f32_f16_e32 v26, v27
	v_cvt_f64_f32_e32 v[2:3], v2
	v_mul_f16_e32 v15, v18, v36
	v_fma_f16 v4, v4, v28, -v9
	v_cvt_f32_f16_e32 v9, v40
	v_cvt_f64_f32_e32 v[26:27], v26
	v_cvt_f64_f32_e32 v[28:29], v16
	s_wait_loadcnt 0x5
	v_lshrrev_b32_e32 v38, 16, v30
	v_fmac_f16_e32 v41, v18, v5
	v_cvt_f32_f16_e32 v17, v4
	v_fma_f16 v15, v5, v31, -v15
	v_cvt_f64_f32_e32 v[4:5], v9
	v_mul_f16_e32 v36, v34, v37
	v_mul_f16_e32 v39, v35, v38
	;; [unrolled: 1-line block ×3, first 2 shown]
	v_cvt_f32_f16_e32 v9, v41
	v_cvt_f64_f32_e32 v[17:18], v17
	v_mul_f16_e32 v37, v19, v37
	v_fmac_f16_e32 v36, v19, v6
	v_fmac_f16_e32 v39, v22, v30
	v_cvt_f32_f16_e32 v15, v15
	v_fma_f16 v16, v30, v35, -v16
	v_cvt_f64_f32_e32 v[30:31], v9
	v_fma_f16 v6, v6, v34, -v37
	v_cvt_f32_f16_e32 v9, v36
	v_cvt_f64_f32_e32 v[34:35], v15
	v_cvt_f32_f16_e32 v15, v39
	v_lshlrev_b64_e32 v[19:20], 2, v[20:21]
	v_cvt_f32_f16_e32 v6, v6
	v_cvt_f64_f32_e32 v[21:22], v9
	v_cvt_f32_f16_e32 v16, v16
	v_cvt_f64_f32_e32 v[38:39], v15
	v_add_co_u32 v15, vcc_lo, s4, v7
	v_cvt_f64_f32_e32 v[36:37], v6
	s_delay_alu instid0(VALU_DEP_4)
	v_cvt_f64_f32_e32 v[40:41], v16
	v_add_co_ci_u32_e32 v16, vcc_lo, s5, v8, vcc_lo
	v_mul_f64_e32 v[24:25], s[28:29], v[24:25]
	v_mul_f64_e32 v[42:43], s[28:29], v[2:3]
	s_wait_loadcnt 0x4
	v_lshrrev_b32_e32 v6, 16, v48
	v_add_co_u32 v19, vcc_lo, v15, v19
	v_mul_f64_e32 v[26:27], s[28:29], v[26:27]
	v_mul_f64_e32 v[28:29], s[28:29], v[28:29]
	s_wait_alu 0xfffd
	v_add_co_ci_u32_e32 v20, vcc_lo, v16, v20, vcc_lo
	v_mul_f16_e32 v2, v49, v6
	v_mul_f16_e32 v3, v23, v6
	v_mul_f64_e32 v[46:47], s[28:29], v[4:5]
	v_add_co_u32 v44, vcc_lo, v19, s26
	s_wait_alu 0xfffd
	v_add_co_ci_u32_e32 v45, vcc_lo, s27, v20, vcc_lo
	v_mul_f64_e32 v[17:18], s[28:29], v[17:18]
	v_fmac_f16_e32 v2, v23, v48
	v_fma_f16 v3, v48, v49, -v3
	v_add_co_u32 v48, vcc_lo, v44, s26
	s_wait_alu 0xfffd
	v_add_co_ci_u32_e32 v49, vcc_lo, s27, v45, vcc_lo
	v_mul_f64_e32 v[30:31], s[28:29], v[30:31]
	v_cvt_f32_f16_e32 v4, v2
	v_mul_f64_e32 v[34:35], s[28:29], v[34:35]
	v_add_co_u32 v2, vcc_lo, v48, s26
	v_cvt_f32_f16_e32 v5, v3
	v_mul_f64_e32 v[21:22], s[28:29], v[21:22]
	s_wait_alu 0xfffd
	v_add_co_ci_u32_e32 v3, vcc_lo, s27, v49, vcc_lo
	v_mul_f64_e32 v[6:7], s[28:29], v[38:39]
	v_cvt_f64_f32_e32 v[50:51], v4
	v_mul_f64_e32 v[36:37], s[28:29], v[36:37]
	v_cvt_f64_f32_e32 v[8:9], v5
	v_mul_f64_e32 v[4:5], s[28:29], v[40:41]
	v_and_or_b32 v23, 0x1ff, v25, v24
	v_and_or_b32 v39, 0x1ff, v43, v42
	v_lshrrev_b32_e32 v24, 8, v25
	v_lshrrev_b32_e32 v40, 8, v43
	v_bfe_u32 v41, v43, 20, 11
	v_cmp_ne_u32_e32 vcc_lo, 0, v23
	v_and_or_b32 v26, 0x1ff, v27, v26
	v_and_or_b32 v28, 0x1ff, v29, v28
	v_lshrrev_b32_e32 v53, 8, v29
	v_bfe_u32 v54, v29, 20, 11
	s_wait_alu 0xfffd
	v_cndmask_b32_e64 v23, 0, 1, vcc_lo
	v_cmp_ne_u32_e32 vcc_lo, 0, v39
	v_and_or_b32 v46, 0x1ff, v47, v46
	v_lshrrev_b32_e32 v55, 8, v47
	v_bfe_u32 v56, v47, 20, 11
	v_lshrrev_b32_e32 v42, 16, v43
	s_wait_alu 0xfffd
	v_cndmask_b32_e64 v39, 0, 1, vcc_lo
	v_cmp_ne_u32_e32 vcc_lo, 0, v26
	v_and_or_b32 v17, 0x1ff, v18, v17
	v_lshrrev_b32_e32 v57, 8, v18
	v_bfe_u32 v58, v18, 20, 11
	v_sub_nc_u32_e32 v74, 0x3f1, v56
	s_wait_alu 0xfffd
	v_cndmask_b32_e64 v26, 0, 1, vcc_lo
	v_cmp_ne_u32_e32 vcc_lo, 0, v28
	v_and_or_b32 v30, 0x1ff, v31, v30
	v_and_or_b32 v34, 0x1ff, v35, v34
	v_lshrrev_b32_e32 v61, 8, v35
	v_bfe_u32 v62, v35, 20, 11
	s_wait_alu 0xfffd
	v_cndmask_b32_e64 v28, 0, 1, vcc_lo
	v_cmp_ne_u32_e32 vcc_lo, 0, v46
	v_and_or_b32 v21, 0x1ff, v22, v21
	v_lshrrev_b32_e32 v63, 8, v22
	v_bfe_u32 v64, v22, 20, 11
	v_lshrrev_b32_e32 v59, 8, v31
	s_wait_alu 0xfffd
	v_cndmask_b32_e64 v46, 0, 1, vcc_lo
	v_cmp_ne_u32_e32 vcc_lo, 0, v17
	v_and_or_b32 v36, 0x1ff, v37, v36
	v_lshrrev_b32_e32 v65, 8, v37
	v_bfe_u32 v66, v37, 20, 11
	v_sub_nc_u32_e32 v78, 0x3f1, v64
	s_wait_alu 0xfffd
	v_cndmask_b32_e64 v17, 0, 1, vcc_lo
	v_cmp_ne_u32_e32 vcc_lo, 0, v30
	v_bfe_u32 v60, v31, 20, 11
	v_sub_nc_u32_e32 v79, 0x3f1, v66
	v_add_nc_u32_e32 v66, 0xfffffc10, v66
	v_sub_nc_u32_e32 v77, 0x3f1, v62
	s_wait_alu 0xfffd
	v_cndmask_b32_e64 v30, 0, 1, vcc_lo
	v_cmp_ne_u32_e32 vcc_lo, 0, v34
	v_sub_nc_u32_e32 v76, 0x3f1, v60
	v_sub_nc_u32_e32 v75, 0x3f1, v58
	v_and_or_b32 v17, 0xffe, v57, v17
	v_and_or_b32 v30, 0xffe, v59, v30
	s_wait_alu 0xfffd
	v_cndmask_b32_e64 v34, 0, 1, vcc_lo
	v_cmp_ne_u32_e32 vcc_lo, 0, v21
	v_and_or_b32 v6, 0x1ff, v7, v6
	v_and_or_b32 v46, 0xffe, v55, v46
	v_lshrrev_b32_e32 v43, 8, v27
	v_and_or_b32 v34, 0xffe, v61, v34
	s_wait_alu 0xfffd
	v_cndmask_b32_e64 v21, 0, 1, vcc_lo
	v_cmp_ne_u32_e32 vcc_lo, 0, v36
	v_bfe_u32 v52, v27, 20, 11
	v_and_or_b32 v4, 0x1ff, v5, v4
	v_sub_nc_u32_e32 v73, 0x3f1, v54
	v_and_or_b32 v21, 0xffe, v63, v21
	s_wait_alu 0xfffd
	v_cndmask_b32_e64 v36, 0, 1, vcc_lo
	v_cmp_ne_u32_e32 vcc_lo, 0, v6
	v_and_or_b32 v28, 0xffe, v53, v28
	v_bfe_u32 v38, v25, 20, 11
	v_sub_nc_u32_e32 v72, 0x3f1, v52
	v_and_or_b32 v36, 0xffe, v65, v36
	v_med3_i32 v65, v79, 0, 13
	s_wait_alu 0xfffd
	v_cndmask_b32_e64 v6, 0, 1, vcc_lo
	v_cmp_ne_u32_e32 vcc_lo, 0, v4
	v_and_or_b32 v23, 0xffe, v24, v23
	v_lshl_or_b32 v89, v66, 12, v36
	v_add_nc_u32_e32 v64, 0xfffffc10, v64
	v_and_or_b32 v26, 0xffe, v43, v26
	v_med3_i32 v61, v77, 0, 13
	v_sub_nc_u32_e32 v70, 0x3f1, v38
	v_sub_nc_u32_e32 v71, 0x3f1, v41
	v_lshl_or_b32 v87, v64, 12, v21
	v_add_nc_u32_e32 v62, 0xfffffc10, v62
	s_wait_alu 0xfffd
	v_cndmask_b32_e64 v4, 0, 1, vcc_lo
	v_and_or_b32 v39, 0xffe, v40, v39
	v_med3_i32 v57, v75, 0, 13
	v_cmp_ne_u32_e32 vcc_lo, 0, v23
	v_lshl_or_b32 v85, v62, 12, v34
	v_add_nc_u32_e32 v60, 0xfffffc10, v60
	v_med3_i32 v24, v70, 0, 13
	v_med3_i32 v40, v71, 0, 13
	v_or_b32_e32 v70, 0x1000, v23
	v_med3_i32 v43, v72, 0, 13
	v_lshl_or_b32 v83, v60, 12, v30
	v_add_nc_u32_e32 v58, 0xfffffc10, v58
	v_med3_i32 v53, v73, 0, 13
	v_or_b32_e32 v72, 0x1000, v39
	v_med3_i32 v55, v74, 0, 13
	v_or_b32_e32 v74, 0x1000, v26
	v_lshl_or_b32 v81, v58, 12, v17
	v_add_nc_u32_e32 v56, 0xfffffc10, v56
	v_bfe_u32 v68, v7, 20, 11
	v_med3_i32 v59, v76, 0, 13
	v_or_b32_e32 v76, 0x1000, v28
	v_lshrrev_b32_e32 v67, 8, v7
	v_lshl_or_b32 v79, v56, 12, v46
	v_add_nc_u32_e32 v54, 0xfffffc10, v54
	v_sub_nc_u32_e32 v80, 0x3f1, v68
	v_med3_i32 v63, v78, 0, 13
	v_or_b32_e32 v78, 0x1000, v46
	v_and_or_b32 v6, 0xffe, v67, v6
	v_lshl_or_b32 v77, v54, 12, v28
	v_add_nc_u32_e32 v52, 0xfffffc10, v52
	v_med3_i32 v67, v80, 0, 13
	v_or_b32_e32 v80, 0x1000, v17
	v_or_b32_e32 v82, 0x1000, v30
	;; [unrolled: 1-line block ×3, first 2 shown]
	v_lshl_or_b32 v75, v52, 12, v26
	v_add_nc_u32_e32 v38, 0xfffffc10, v38
	v_lshrrev_b32_e32 v92, v24, v70
	v_or_b32_e32 v86, 0x1000, v21
	v_lshrrev_b32_e32 v93, v40, v72
	v_or_b32_e32 v88, 0x1000, v36
	v_lshl_or_b32 v71, v38, 12, v23
	v_add_nc_u32_e32 v41, 0xfffffc10, v41
	s_wait_alu 0xfffd
	v_cndmask_b32_e64 v23, 0, 1, vcc_lo
	v_cmp_ne_u32_e32 vcc_lo, 0, v39
	v_lshlrev_b32_e32 v24, v24, v92
	v_lshlrev_b32_e32 v40, v40, v93
	v_lshl_or_b32 v73, v41, 12, v39
	v_lshrrev_b32_e32 v94, v43, v74
	s_wait_alu 0xfffd
	v_cndmask_b32_e64 v39, 0, 1, vcc_lo
	v_cmp_ne_u32_e32 vcc_lo, 0, v26
	v_lshrrev_b32_e32 v95, v53, v76
	v_lshrrev_b32_e32 v96, v55, v78
	;; [unrolled: 1-line block ×3, first 2 shown]
	v_lshl_or_b32 v39, v39, 9, 0x7c00
	s_wait_alu 0xfffd
	v_cndmask_b32_e64 v26, 0, 1, vcc_lo
	v_cmp_ne_u32_e32 vcc_lo, 0, v28
	v_lshlrev_b32_e32 v53, v53, v95
	v_lshlrev_b32_e32 v55, v55, v96
	v_lshrrev_b32_e32 v98, v59, v82
	v_lshlrev_b32_e32 v57, v57, v97
	s_wait_alu 0xfffd
	v_cndmask_b32_e64 v28, 0, 1, vcc_lo
	v_cmp_ne_u32_e32 vcc_lo, 0, v46
	v_lshrrev_b32_e32 v99, v61, v84
	v_lshl_or_b32 v26, v26, 9, 0x7c00
	v_lshrrev_b32_e32 v100, v63, v86
	v_lshl_or_b32 v28, v28, 9, 0x7c00
	s_wait_alu 0xfffd
	v_cndmask_b32_e64 v46, 0, 1, vcc_lo
	v_cmp_ne_u32_e32 vcc_lo, 0, v17
	v_lshlrev_b32_e32 v59, v59, v98
	v_lshlrev_b32_e32 v61, v61, v99
	v_or_b32_e32 v90, 0x1000, v6
	v_lshrrev_b32_e32 v101, v65, v88
	s_wait_alu 0xfffd
	v_cndmask_b32_e64 v17, 0, 1, vcc_lo
	v_cmp_ne_u32_e32 vcc_lo, 0, v30
	v_lshl_or_b32 v46, v46, 9, 0x7c00
	v_lshrrev_b32_e32 v102, v67, v90
	v_lshlrev_b32_e32 v65, v65, v101
	v_lshl_or_b32 v23, v23, 9, 0x7c00
	s_wait_alu 0xfffd
	v_cndmask_b32_e64 v30, 0, 1, vcc_lo
	v_cmp_ne_u32_e32 vcc_lo, 0, v34
	v_lshlrev_b32_e32 v67, v67, v102
	v_lshrrev_b32_e32 v25, 16, v25
	v_lshl_or_b32 v17, v17, 9, 0x7c00
	v_lshl_or_b32 v30, v30, 9, 0x7c00
	s_wait_alu 0xfffd
	v_cndmask_b32_e64 v34, 0, 1, vcc_lo
	v_cmp_ne_u32_e32 vcc_lo, 0, v21
	v_lshrrev_b32_e32 v27, 16, v27
	v_lshrrev_b32_e32 v47, 16, v47
	;; [unrolled: 1-line block ×3, first 2 shown]
	v_lshl_or_b32 v34, v34, 9, 0x7c00
	s_wait_alu 0xfffd
	v_cndmask_b32_e64 v21, 0, 1, vcc_lo
	v_cmp_ne_u32_e32 vcc_lo, 0, v36
	v_lshlrev_b32_e32 v63, v63, v100
	v_lshrrev_b32_e32 v18, 16, v18
	v_lshrrev_b32_e32 v31, 16, v31
	v_lshl_or_b32 v21, v21, 9, 0x7c00
	s_wait_alu 0xfffd
	v_cndmask_b32_e64 v36, 0, 1, vcc_lo
	v_cmp_ne_u32_e32 vcc_lo, v24, v70
	v_lshrrev_b32_e32 v35, 16, v35
	v_lshrrev_b32_e32 v69, 8, v5
	;; [unrolled: 1-line block ×3, first 2 shown]
	v_mul_f64_e32 v[8:9], s[28:29], v[8:9]
	s_wait_alu 0xfffd
	v_cndmask_b32_e64 v24, 0, 1, vcc_lo
	v_cmp_ne_u32_e32 vcc_lo, v40, v72
	v_and_or_b32 v4, 0xffe, v69, v4
	v_lshrrev_b32_e32 v7, 16, v7
	s_delay_alu instid0(VALU_DEP_4) | instskip(SKIP_2) | instid1(VALU_DEP_1)
	v_or_b32_e32 v24, v92, v24
	s_wait_alu 0xfffd
	v_cndmask_b32_e64 v40, 0, 1, vcc_lo
	v_or_b32_e32 v40, v93, v40
	v_lshlrev_b32_e32 v43, v43, v94
	s_delay_alu instid0(VALU_DEP_1) | instskip(SKIP_3) | instid1(VALU_DEP_2)
	v_cmp_ne_u32_e32 vcc_lo, v43, v74
	s_wait_alu 0xfffd
	v_cndmask_b32_e64 v43, 0, 1, vcc_lo
	v_cmp_ne_u32_e32 vcc_lo, v53, v76
	v_or_b32_e32 v43, v94, v43
	s_wait_alu 0xfffd
	v_cndmask_b32_e64 v53, 0, 1, vcc_lo
	v_cmp_ne_u32_e32 vcc_lo, v55, v78
	s_delay_alu instid0(VALU_DEP_2) | instskip(SKIP_4) | instid1(VALU_DEP_3)
	v_or_b32_e32 v53, v95, v53
	s_wait_alu 0xfffd
	v_cndmask_b32_e64 v55, 0, 1, vcc_lo
	v_cmp_ne_u32_e32 vcc_lo, v57, v80
	v_and_or_b32 v8, 0x1ff, v9, v8
	v_or_b32_e32 v55, v96, v55
	s_wait_alu 0xfffd
	v_cndmask_b32_e64 v57, 0, 1, vcc_lo
	v_cmp_ne_u32_e32 vcc_lo, v59, v82
	s_delay_alu instid0(VALU_DEP_2) | instskip(SKIP_3) | instid1(VALU_DEP_2)
	v_or_b32_e32 v57, v97, v57
	s_wait_alu 0xfffd
	v_cndmask_b32_e64 v59, 0, 1, vcc_lo
	v_cmp_ne_u32_e32 vcc_lo, v61, v84
	v_or_b32_e32 v59, v98, v59
	s_wait_alu 0xfffd
	v_cndmask_b32_e64 v61, 0, 1, vcc_lo
	v_cmp_ne_u32_e32 vcc_lo, v63, v86
	s_delay_alu instid0(VALU_DEP_2) | instskip(SKIP_3) | instid1(VALU_DEP_2)
	v_or_b32_e32 v61, v99, v61
	s_wait_alu 0xfffd
	v_cndmask_b32_e64 v63, 0, 1, vcc_lo
	v_cmp_ne_u32_e32 vcc_lo, v65, v88
	v_or_b32_e32 v63, v100, v63
	s_wait_alu 0xfffd
	v_cndmask_b32_e64 v65, 0, 1, vcc_lo
	v_cmp_ne_u32_e32 vcc_lo, v67, v90
	s_delay_alu instid0(VALU_DEP_2) | instskip(SKIP_3) | instid1(VALU_DEP_2)
	v_or_b32_e32 v65, v101, v65
	s_wait_alu 0xfffd
	v_cndmask_b32_e64 v67, 0, 1, vcc_lo
	v_cmp_gt_i32_e32 vcc_lo, 1, v38
	v_or_b32_e32 v67, v102, v67
	s_wait_alu 0xfffd
	v_cndmask_b32_e32 v24, v71, v24, vcc_lo
	v_cmp_gt_i32_e32 vcc_lo, 1, v41
	s_delay_alu instid0(VALU_DEP_2)
	v_and_b32_e32 v70, 7, v24
	s_wait_alu 0xfffd
	v_cndmask_b32_e32 v40, v73, v40, vcc_lo
	v_cmp_gt_i32_e32 vcc_lo, 1, v52
	v_lshrrev_b32_e32 v24, 2, v24
	v_cmp_eq_u32_e64 s0, 3, v70
	s_delay_alu instid0(VALU_DEP_4)
	v_and_b32_e32 v71, 7, v40
	s_wait_alu 0xfffd
	v_cndmask_b32_e32 v43, v75, v43, vcc_lo
	v_cmp_gt_i32_e32 vcc_lo, 1, v54
	v_lshrrev_b32_e32 v40, 2, v40
	v_cmp_lt_i32_e64 s1, 5, v71
	s_wait_alu 0xfffd
	v_dual_cndmask_b32 v53, v77, v53 :: v_dual_and_b32 v72, 7, v43
	v_cmp_gt_i32_e32 vcc_lo, 1, v56
	v_cmp_eq_u32_e64 s2, 3, v71
	v_lshrrev_b32_e32 v43, 2, v43
	s_delay_alu instid0(VALU_DEP_4)
	v_cmp_lt_i32_e64 s3, 5, v72
	v_and_b32_e32 v73, 7, v53
	s_wait_alu 0xfffd
	v_cndmask_b32_e32 v55, v79, v55, vcc_lo
	v_cmp_gt_i32_e32 vcc_lo, 1, v58
	v_cmp_eq_u32_e64 s4, 3, v72
	v_lshrrev_b32_e32 v53, 2, v53
	v_cmp_lt_i32_e64 s5, 5, v73
	s_wait_alu 0xfffd
	v_dual_cndmask_b32 v57, v81, v57 :: v_dual_and_b32 v74, 7, v55
	v_cmp_gt_i32_e32 vcc_lo, 1, v60
	v_cmp_eq_u32_e64 s6, 3, v73
	v_lshrrev_b32_e32 v55, 2, v55
	s_delay_alu instid0(VALU_DEP_4)
	v_cmp_lt_i32_e64 s7, 5, v74
	v_and_b32_e32 v75, 7, v57
	s_wait_alu 0xfffd
	v_cndmask_b32_e32 v59, v83, v59, vcc_lo
	v_cmp_gt_i32_e32 vcc_lo, 1, v62
	v_cmp_eq_u32_e64 s8, 3, v74
	;; [unrolled: 14-line block ×3, first 2 shown]
	v_lshrrev_b32_e32 v61, 2, v61
	v_cmp_lt_i32_e64 s13, 5, v77
	s_wait_alu 0xfffd
	v_dual_cndmask_b32 v65, v89, v65 :: v_dual_and_b32 v78, 7, v63
	v_cmp_lt_i32_e32 vcc_lo, 5, v70
	v_cmp_eq_u32_e64 s14, 3, v77
	v_lshrrev_b32_e32 v63, 2, v63
	s_delay_alu instid0(VALU_DEP_4)
	v_cmp_lt_i32_e64 s15, 5, v78
	v_and_b32_e32 v79, 7, v65
	s_or_b32 vcc_lo, s0, vcc_lo
	v_cmp_eq_u32_e64 s16, 3, v78
	s_wait_alu 0xfffe
	v_add_co_ci_u32_e32 v24, vcc_lo, 0, v24, vcc_lo
	s_or_b32 vcc_lo, s2, s1
	v_cmp_lt_i32_e64 s17, 5, v79
	s_wait_alu 0xfffe
	v_add_co_ci_u32_e32 v40, vcc_lo, 0, v40, vcc_lo
	s_or_b32 vcc_lo, s4, s3
	v_cmp_eq_u32_e64 s18, 3, v79
	s_wait_alu 0xfffe
	v_add_co_ci_u32_e32 v43, vcc_lo, 0, v43, vcc_lo
	s_or_b32 vcc_lo, s6, s5
	v_lshrrev_b32_e32 v65, 2, v65
	s_wait_alu 0xfffe
	v_add_co_ci_u32_e32 v53, vcc_lo, 0, v53, vcc_lo
	s_or_b32 vcc_lo, s8, s7
	s_wait_alu 0xfffe
	v_add_co_ci_u32_e32 v55, vcc_lo, 0, v55, vcc_lo
	s_or_b32 vcc_lo, s10, s9
	;; [unrolled: 3-line block ×6, first 2 shown]
	s_wait_alu 0xfffe
	v_add_co_ci_u32_e32 v65, vcc_lo, 0, v65, vcc_lo
	v_cmp_gt_i32_e32 vcc_lo, 31, v38
	s_wait_alu 0xfffd
	v_cndmask_b32_e32 v24, 0x7c00, v24, vcc_lo
	v_cmp_gt_i32_e32 vcc_lo, 31, v41
	s_wait_alu 0xfffd
	v_cndmask_b32_e32 v40, 0x7c00, v40, vcc_lo
	;; [unrolled: 3-line block ×10, first 2 shown]
	v_cmp_eq_u32_e32 vcc_lo, 0x40f, v38
	s_wait_alu 0xfffd
	v_cndmask_b32_e32 v23, v24, v23, vcc_lo
	v_cmp_eq_u32_e32 vcc_lo, 0x40f, v41
	s_delay_alu instid0(VALU_DEP_2) | instskip(SKIP_3) | instid1(VALU_DEP_3)
	v_and_or_b32 v23, 0x8000, v25, v23
	s_wait_alu 0xfffd
	v_cndmask_b32_e32 v24, v40, v39, vcc_lo
	v_cmp_eq_u32_e32 vcc_lo, 0x40f, v52
	v_and_b32_e32 v23, 0xffff, v23
	s_delay_alu instid0(VALU_DEP_3) | instskip(SKIP_3) | instid1(VALU_DEP_3)
	v_and_or_b32 v24, 0x8000, v42, v24
	s_wait_alu 0xfffd
	v_cndmask_b32_e32 v26, v43, v26, vcc_lo
	v_cmp_eq_u32_e32 vcc_lo, 0x40f, v54
	v_lshl_or_b32 v23, v24, 16, v23
	s_delay_alu instid0(VALU_DEP_3) | instskip(SKIP_3) | instid1(VALU_DEP_3)
	v_and_or_b32 v25, 0x8000, v27, v26
	s_wait_alu 0xfffd
	v_cndmask_b32_e32 v28, v53, v28, vcc_lo
	v_cmp_eq_u32_e32 vcc_lo, 0x40f, v56
	v_and_b32_e32 v25, 0xffff, v25
	s_delay_alu instid0(VALU_DEP_3)
	v_and_or_b32 v26, 0x8000, v29, v28
	s_wait_alu 0xfffd
	v_cndmask_b32_e32 v38, v55, v46, vcc_lo
	v_cmp_eq_u32_e32 vcc_lo, 0x40f, v58
	v_add_nc_u32_e32 v68, 0xfffffc10, v68
	v_lshl_or_b32 v24, v26, 16, v25
	s_delay_alu instid0(VALU_DEP_4)
	v_and_or_b32 v27, 0x8000, v47, v38
	s_wait_alu 0xfffd
	v_cndmask_b32_e32 v17, v57, v17, vcc_lo
	v_cmp_eq_u32_e32 vcc_lo, 0x40f, v60
	v_lshl_or_b32 v91, v68, 12, v6
	v_or_b32_e32 v26, 0x1000, v4
	v_and_b32_e32 v27, 0xffff, v27
	v_and_or_b32 v17, 0x8000, v18, v17
	s_wait_alu 0xfffd
	v_cndmask_b32_e32 v30, v59, v30, vcc_lo
	v_cmp_eq_u32_e32 vcc_lo, 0x40f, v62
	s_delay_alu instid0(VALU_DEP_3) | instskip(NEXT) | instid1(VALU_DEP_3)
	v_lshl_or_b32 v17, v17, 16, v27
	v_and_or_b32 v18, 0x8000, v31, v30
	s_wait_alu 0xfffd
	v_cndmask_b32_e32 v34, v61, v34, vcc_lo
	v_cmp_eq_u32_e32 vcc_lo, 0x40f, v64
	s_clause 0x2
	global_store_b32 v[19:20], v23, off
	global_store_b32 v[44:45], v24, off
	;; [unrolled: 1-line block ×3, first 2 shown]
	v_bfe_u32 v19, v5, 20, 11
	v_and_b32_e32 v18, 0xffff, v18
	v_and_or_b32 v28, 0x8000, v35, v34
	s_wait_alu 0xfffd
	v_cndmask_b32_e32 v21, v63, v21, vcc_lo
	v_cmp_gt_i32_e32 vcc_lo, 1, v68
	v_lshl_or_b32 v17, v36, 9, 0x7c00
	v_lshrrev_b32_e32 v23, 16, v37
	v_lshl_or_b32 v25, v28, 16, v18
	v_sub_nc_u32_e32 v18, 0x3f1, v19
	s_wait_alu 0xfffd
	v_cndmask_b32_e32 v20, v91, v67, vcc_lo
	v_cmp_eq_u32_e32 vcc_lo, 0x40f, v66
	v_and_or_b32 v21, 0x8000, v22, v21
	s_wait_dscnt 0x0
	v_lshrrev_b32_e32 v28, 16, v0
	v_med3_i32 v27, v18, 0, 13
	v_and_b32_e32 v24, 7, v20
	s_wait_alu 0xfffd
	v_cndmask_b32_e32 v22, v65, v17, vcc_lo
	v_mul_f64_e32 v[17:18], s[28:29], v[50:51]
	v_and_b32_e32 v21, 0xffff, v21
	v_lshrrev_b32_e32 v20, 2, v20
	v_cmp_lt_i32_e32 vcc_lo, 5, v24
	v_and_or_b32 v22, 0x8000, v23, v22
	v_lshrrev_b32_e32 v23, v27, v26
	v_cmp_eq_u32_e64 s0, 3, v24
	s_wait_loadcnt 0x3
	v_lshrrev_b32_e32 v31, 16, v12
	s_clause 0x1
	global_load_b32 v29, v33, s[24:25] offset:1760
	global_load_b32 v30, v33, s[24:25] offset:1920
	v_lshl_or_b32 v24, v22, 16, v21
	v_lshlrev_b32_e32 v21, v27, v23
	s_or_b32 vcc_lo, s0, vcc_lo
	v_mul_f16_e32 v22, v28, v31
	s_wait_alu 0xfffe
	v_add_co_ci_u32_e32 v20, vcc_lo, 0, v20, vcc_lo
	v_cmp_ne_u32_e32 vcc_lo, v21, v26
	v_add_nc_u32_e32 v26, 0xfffffc10, v19
	v_fmac_f16_e32 v22, v0, v12
	v_mul_f16_e32 v0, v0, v31
	v_lshrrev_b32_e32 v5, 16, v5
	s_wait_alu 0xfffd
	v_cndmask_b32_e64 v21, 0, 1, vcc_lo
	v_cmp_ne_u32_e32 vcc_lo, 0, v6
	v_cvt_f32_f16_e32 v22, v22
	v_fma_f16 v0, v12, v28, -v0
	s_delay_alu instid0(VALU_DEP_4)
	v_or_b32_e32 v19, v23, v21
	s_wait_alu 0xfffd
	v_cndmask_b32_e64 v6, 0, 1, vcc_lo
	v_cmp_gt_i32_e32 vcc_lo, 31, v68
	v_lshl_or_b32 v21, v26, 12, v4
	v_cvt_f32_f16_e32 v0, v0
	s_delay_alu instid0(VALU_DEP_4)
	v_lshl_or_b32 v6, v6, 9, 0x7c00
	s_wait_alu 0xfffd
	v_cndmask_b32_e32 v23, 0x7c00, v20, vcc_lo
	v_cmp_gt_i32_e32 vcc_lo, 1, v26
	s_wait_alu 0xfffd
	v_cndmask_b32_e32 v27, v21, v19, vcc_lo
	v_cvt_f64_f32_e32 v[19:20], v22
	v_add_co_u32 v21, vcc_lo, v2, s26
	v_and_or_b32 v17, 0x1ff, v18, v17
	s_wait_alu 0xfffd
	v_add_co_ci_u32_e32 v22, vcc_lo, s27, v3, vcc_lo
	v_cmp_eq_u32_e32 vcc_lo, 0x40f, v68
	v_and_b32_e32 v33, 7, v27
	v_cmp_ne_u32_e64 s0, 0, v17
	v_bfe_u32 v34, v18, 20, 11
	s_clause 0x1
	global_store_b32 v[2:3], v25, off
	global_store_b32 v[21:22], v24, off
	s_wait_alu 0xfffd
	v_cndmask_b32_e32 v6, v23, v6, vcc_lo
	v_cmp_lt_i32_e32 vcc_lo, 5, v33
	s_wait_alu 0xf1ff
	v_cndmask_b32_e64 v17, 0, 1, s0
	v_cmp_eq_u32_e64 s0, 3, v33
	v_lshrrev_b32_e32 v23, 8, v18
	v_and_or_b32 v33, 0x8000, v7, v6
	v_lshrrev_b32_e32 v6, 2, v27
	v_sub_nc_u32_e32 v7, 0x3f1, v34
	s_or_b32 vcc_lo, s0, vcc_lo
	v_and_or_b32 v17, 0xffe, v23, v17
	v_lshrrev_b32_e32 v18, 16, v18
	s_wait_alu 0xfffe
	v_add_co_ci_u32_e32 v6, vcc_lo, 0, v6, vcc_lo
	v_cmp_ne_u32_e32 vcc_lo, 0, v4
	v_or_b32_e32 v23, 0x1000, v17
	v_med3_i32 v7, v7, 0, 13
	s_wait_alu 0xfffd
	v_cndmask_b32_e64 v4, 0, 1, vcc_lo
	v_cmp_gt_i32_e32 vcc_lo, 31, v26
	s_delay_alu instid0(VALU_DEP_3) | instskip(NEXT) | instid1(VALU_DEP_3)
	v_lshrrev_b32_e32 v27, v7, v23
	v_lshl_or_b32 v4, v4, 9, 0x7c00
	s_wait_alu 0xfffd
	v_cndmask_b32_e32 v6, 0x7c00, v6, vcc_lo
	v_cmp_eq_u32_e32 vcc_lo, 0x40f, v26
	v_lshlrev_b32_e32 v12, v7, v27
	v_lshrrev_b32_e32 v26, 8, v9
	s_wait_alu 0xfffd
	v_cndmask_b32_e32 v4, v6, v4, vcc_lo
	v_cmp_ne_u32_e32 vcc_lo, 0, v8
	v_mul_f64_e32 v[6:7], s[28:29], v[19:20]
	v_cvt_f64_f32_e32 v[19:20], v0
	v_bfe_u32 v0, v9, 20, 11
	v_and_or_b32 v4, 0x8000, v5, v4
	s_wait_alu 0xfffd
	v_cndmask_b32_e64 v8, 0, 1, vcc_lo
	v_cmp_ne_u32_e32 vcc_lo, v12, v23
	v_add_nc_u32_e32 v23, 0xfffffc10, v34
	v_and_b32_e32 v5, 0xffff, v33
	v_lshrrev_b32_e32 v9, 16, v9
	v_and_or_b32 v8, 0xffe, v26, v8
	s_wait_alu 0xfffd
	v_cndmask_b32_e64 v12, 0, 1, vcc_lo
	v_sub_nc_u32_e32 v26, 0x3f1, v0
	v_cmp_gt_i32_e32 vcc_lo, 1, v23
	v_lshl_or_b32 v24, v4, 16, v5
	v_or_b32_e32 v28, 0x1000, v8
	v_or_b32_e32 v12, v27, v12
	v_lshl_or_b32 v27, v23, 12, v17
	v_med3_i32 v26, v26, 0, 13
	s_wait_alu 0xfffd
	s_delay_alu instid0(VALU_DEP_2) | instskip(NEXT) | instid1(VALU_DEP_2)
	v_cndmask_b32_e32 v12, v27, v12, vcc_lo
	v_lshrrev_b32_e32 v27, v26, v28
	v_add_co_u32 v2, vcc_lo, v21, s26
	s_wait_alu 0xfffd
	v_add_co_ci_u32_e32 v3, vcc_lo, s27, v22, vcc_lo
	s_delay_alu instid0(VALU_DEP_3)
	v_lshlrev_b32_e32 v5, v26, v27
	v_add_nc_u32_e32 v21, 0xfffffc10, v0
	v_lshrrev_b32_e32 v0, 16, v1
	s_wait_loadcnt 0x4
	v_lshrrev_b32_e32 v22, 16, v13
	v_and_b32_e32 v4, 7, v12
	v_cmp_ne_u32_e64 s0, v5, v28
	v_lshl_or_b32 v26, v21, 12, v8
	v_cmp_gt_i32_e64 s1, 1, v21
	v_lshrrev_b32_e32 v12, 2, v12
	v_cmp_lt_i32_e32 vcc_lo, 5, v4
	s_wait_alu 0xf1ff
	v_cndmask_b32_e64 v5, 0, 1, s0
	v_and_or_b32 v6, 0x1ff, v7, v6
	v_cmp_eq_u32_e64 s0, 3, v4
	v_bfe_u32 v28, v7, 20, 11
	global_store_b32 v[2:3], v24, off
	v_or_b32_e32 v25, v27, v5
	v_mul_f16_e32 v27, v0, v22
	v_mul_f64_e32 v[4:5], s[28:29], v[19:20]
	s_or_b32 vcc_lo, s0, vcc_lo
	s_delay_alu instid0(VALU_DEP_3) | instskip(NEXT) | instid1(VALU_DEP_3)
	v_cndmask_b32_e64 v25, v26, v25, s1
	v_fmac_f16_e32 v27, v1, v13
	v_cmp_ne_u32_e64 s1, 0, v6
	v_lshrrev_b32_e32 v26, 8, v7
	s_wait_alu 0xfffe
	v_add_co_ci_u32_e32 v12, vcc_lo, 0, v12, vcc_lo
	v_cvt_f32_f16_e32 v19, v27
	s_wait_alu 0xf1ff
	v_cndmask_b32_e64 v6, 0, 1, s1
	v_and_b32_e32 v27, 7, v25
	v_cmp_ne_u32_e32 vcc_lo, 0, v17
	v_lshrrev_b32_e32 v25, 2, v25
	v_cvt_f64_f32_e32 v[19:20], v19
	v_and_or_b32 v6, 0xffe, v26, v6
	v_sub_nc_u32_e32 v26, 0x3f1, v28
	s_wait_alu 0xfffd
	v_cndmask_b32_e64 v17, 0, 1, vcc_lo
	v_cmp_lt_i32_e32 vcc_lo, 5, v27
	v_cmp_eq_u32_e64 s0, 3, v27
	v_or_b32_e32 v27, 0x1000, v6
	v_med3_i32 v26, v26, 0, 13
	v_cmp_gt_i32_e64 s1, 31, v23
	v_lshl_or_b32 v17, v17, 9, 0x7c00
	s_or_b32 vcc_lo, s0, vcc_lo
	v_mul_f16_e32 v1, v1, v22
	s_wait_alu 0xfffe
	v_add_co_ci_u32_e32 v25, vcc_lo, 0, v25, vcc_lo
	v_cndmask_b32_e64 v12, 0x7c00, v12, s1
	v_lshrrev_b32_e32 v31, v26, v27
	v_cmp_eq_u32_e32 vcc_lo, 0x40f, v23
	v_fma_f16 v0, v13, v0, -v1
	s_wait_alu 0xfffd
	v_cndmask_b32_e32 v17, v12, v17, vcc_lo
	v_cmp_gt_i32_e32 vcc_lo, 31, v21
	v_lshlrev_b32_e32 v12, v26, v31
	v_and_or_b32 v4, 0x1ff, v5, v4
	v_lshrrev_b32_e32 v26, 8, v5
	v_and_or_b32 v17, 0x8000, v18, v17
	s_wait_alu 0xfffd
	v_cndmask_b32_e32 v23, 0x7c00, v25, vcc_lo
	v_cmp_ne_u32_e32 vcc_lo, v12, v27
	v_add_nc_u32_e32 v25, 0xfffffc10, v28
	v_bfe_u32 v27, v5, 20, 11
	v_and_b32_e32 v17, 0xffff, v17
	s_wait_alu 0xfffd
	v_cndmask_b32_e64 v12, 0, 1, vcc_lo
	v_cmp_ne_u32_e32 vcc_lo, 0, v8
	v_lshl_or_b32 v28, v25, 12, v6
	s_delay_alu instid0(VALU_DEP_3)
	v_or_b32_e32 v22, v31, v12
	s_wait_alu 0xfffd
	v_cndmask_b32_e64 v8, 0, 1, vcc_lo
	v_cmp_ne_u32_e32 vcc_lo, 0, v4
	v_cvt_f32_f16_e32 v12, v0
	v_mul_f64_e32 v[0:1], s[28:29], v[19:20]
	v_sub_nc_u32_e32 v19, 0x3f1, v27
	v_lshl_or_b32 v8, v8, 9, 0x7c00
	s_wait_alu 0xfffd
	v_cndmask_b32_e64 v4, 0, 1, vcc_lo
	v_cvt_f64_f32_e32 v[12:13], v12
	v_cmp_gt_i32_e32 vcc_lo, 1, v25
	v_med3_i32 v19, v19, 0, 13
	s_delay_alu instid0(VALU_DEP_4) | instskip(SKIP_3) | instid1(VALU_DEP_3)
	v_and_or_b32 v4, 0xffe, v26, v4
	s_wait_alu 0xfffd
	v_cndmask_b32_e32 v20, v28, v22, vcc_lo
	v_cmp_eq_u32_e32 vcc_lo, 0x40f, v21
	v_or_b32_e32 v22, 0x1000, v4
	s_delay_alu instid0(VALU_DEP_3)
	v_and_b32_e32 v21, 7, v20
	s_wait_alu 0xfffd
	v_cndmask_b32_e32 v8, v23, v8, vcc_lo
	v_lshrrev_b32_e32 v20, 2, v20
	v_lshrrev_b32_e32 v18, v19, v22
	v_cmp_lt_i32_e32 vcc_lo, 5, v21
	v_cmp_eq_u32_e64 s0, 3, v21
	v_and_or_b32 v23, 0x8000, v9, v8
	s_delay_alu instid0(VALU_DEP_4)
	v_lshlrev_b32_e32 v19, v19, v18
	ds_load_2addr_b32 v[8:9], v10 offset0:104 offset1:144
	v_add_nc_u32_e32 v21, 0xfffffc10, v27
	s_or_b32 vcc_lo, s0, vcc_lo
	v_lshrrev_b32_e32 v27, 16, v7
	s_wait_alu 0xfffe
	v_add_co_ci_u32_e32 v20, vcc_lo, 0, v20, vcc_lo
	v_cmp_ne_u32_e64 s1, v19, v22
	v_cmp_ne_u32_e32 vcc_lo, 0, v6
	s_wait_loadcnt 0x3
	v_lshrrev_b32_e32 v22, 16, v14
	v_lshl_or_b32 v17, v23, 16, v17
	s_wait_alu 0xf1ff
	v_cndmask_b32_e64 v19, 0, 1, s1
	s_wait_alu 0xfffd
	v_cndmask_b32_e64 v6, 0, 1, vcc_lo
	v_cmp_gt_i32_e32 vcc_lo, 31, v25
	v_and_or_b32 v0, 0x1ff, v1, v0
	v_lshrrev_b32_e32 v24, 8, v1
	v_or_b32_e32 v18, v18, v19
	v_lshl_or_b32 v19, v21, 12, v4
	s_wait_alu 0xfffd
	v_cndmask_b32_e32 v20, 0x7c00, v20, vcc_lo
	v_cmp_gt_i32_e32 vcc_lo, 1, v21
	v_mul_f64_e32 v[12:13], s[28:29], v[12:13]
	v_lshl_or_b32 v6, v6, 9, 0x7c00
	s_wait_alu 0xfffd
	v_cndmask_b32_e32 v18, v19, v18, vcc_lo
	v_cmp_eq_u32_e32 vcc_lo, 0x40f, v25
	v_bfe_u32 v25, v1, 20, 11
	s_wait_alu 0xfffd
	v_cndmask_b32_e32 v19, v20, v6, vcc_lo
	s_wait_dscnt 0x0
	v_lshrrev_b32_e32 v20, 16, v8
	v_cmp_ne_u32_e32 vcc_lo, 0, v0
	v_and_b32_e32 v6, 7, v18
	v_sub_nc_u32_e32 v7, 0x3f1, v25
	s_delay_alu instid0(VALU_DEP_4)
	v_mul_f16_e32 v26, v20, v22
	s_wait_alu 0xfffd
	v_cndmask_b32_e64 v0, 0, 1, vcc_lo
	v_cmp_lt_i32_e32 vcc_lo, 5, v6
	v_cmp_eq_u32_e64 s0, 3, v6
	v_lshrrev_b32_e32 v6, 2, v18
	v_fmac_f16_e32 v26, v8, v14
	v_and_or_b32 v0, 0xffe, v24, v0
	v_med3_i32 v24, v7, 0, 13
	s_or_b32 vcc_lo, s0, vcc_lo
	s_delay_alu instid0(VALU_DEP_3)
	v_cvt_f32_f16_e32 v7, v26
	s_wait_alu 0xfffe
	v_add_co_ci_u32_e32 v26, vcc_lo, 0, v6, vcc_lo
	v_or_b32_e32 v18, 0x1000, v0
	v_cmp_ne_u32_e32 vcc_lo, 0, v4
	v_cvt_f64_f32_e32 v[6:7], v7
	s_delay_alu instid0(VALU_DEP_3) | instskip(SKIP_3) | instid1(VALU_DEP_3)
	v_lshrrev_b32_e32 v28, v24, v18
	s_wait_alu 0xfffd
	v_cndmask_b32_e64 v4, 0, 1, vcc_lo
	v_cmp_gt_i32_e32 vcc_lo, 31, v21
	v_lshlrev_b32_e32 v23, v24, v28
	s_delay_alu instid0(VALU_DEP_3)
	v_lshl_or_b32 v4, v4, 9, 0x7c00
	s_wait_alu 0xfffd
	v_cndmask_b32_e32 v26, 0x7c00, v26, vcc_lo
	v_cmp_eq_u32_e32 vcc_lo, 0x40f, v21
	v_lshrrev_b32_e32 v24, 16, v5
	v_and_or_b32 v5, 0x1ff, v13, v12
	v_add_nc_u32_e32 v12, 0xfffffc10, v25
	v_and_or_b32 v19, 0x8000, v27, v19
	s_wait_alu 0xfffd
	v_cndmask_b32_e32 v21, v26, v4, vcc_lo
	v_cmp_ne_u32_e32 vcc_lo, v23, v18
	v_mul_f16_e32 v4, v8, v22
	v_bfe_u32 v18, v13, 20, 11
	v_and_b32_e32 v19, 0xffff, v19
	v_and_or_b32 v21, 0x8000, v24, v21
	s_wait_alu 0xfffd
	v_cndmask_b32_e64 v8, 0, 1, vcc_lo
	v_cmp_ne_u32_e32 vcc_lo, 0, v5
	v_fma_f16 v4, v14, v20, -v4
	v_lshrrev_b32_e32 v14, 8, v13
	v_lshl_or_b32 v20, v12, 12, v0
	v_or_b32_e32 v8, v28, v8
	s_wait_alu 0xfffd
	v_cndmask_b32_e64 v5, 0, 1, vcc_lo
	v_sub_nc_u32_e32 v22, 0x3f1, v18
	v_cmp_gt_i32_e32 vcc_lo, 1, v12
	v_cvt_f32_f16_e32 v4, v4
	v_lshl_or_b32 v19, v21, 16, v19
	v_and_or_b32 v14, 0xffe, v14, v5
	v_med3_i32 v22, v22, 0, 13
	s_wait_alu 0xfffd
	v_cndmask_b32_e32 v8, v20, v8, vcc_lo
	v_add_co_u32 v2, vcc_lo, v2, s26
	v_or_b32_e32 v20, 0x1000, v14
	s_wait_alu 0xfffd
	v_add_co_ci_u32_e32 v3, vcc_lo, s27, v3, vcc_lo
	v_cvt_f64_f32_e32 v[4:5], v4
	v_mul_f64_e32 v[6:7], s[28:29], v[6:7]
	v_lshrrev_b32_e32 v23, v22, v20
	global_store_b32 v[2:3], v17, off
	v_lshrrev_b32_e32 v21, 16, v9
	v_lshrrev_b32_e32 v13, 16, v13
	v_lshlrev_b32_e32 v17, v22, v23
	s_wait_loadcnt 0x2
	v_lshrrev_b32_e32 v22, 16, v11
	s_delay_alu instid0(VALU_DEP_2) | instskip(SKIP_2) | instid1(VALU_DEP_2)
	v_cmp_ne_u32_e64 s1, v17, v20
	v_add_nc_u32_e32 v20, 0xfffffc10, v18
	s_wait_alu 0xf1ff
	v_cndmask_b32_e64 v17, 0, 1, s1
	s_delay_alu instid0(VALU_DEP_2) | instskip(NEXT) | instid1(VALU_DEP_2)
	v_lshl_or_b32 v18, v20, 12, v14
	v_or_b32_e32 v17, v23, v17
	v_and_b32_e32 v24, 7, v8
	v_lshrrev_b32_e32 v8, 2, v8
	s_delay_alu instid0(VALU_DEP_2) | instskip(SKIP_1) | instid1(VALU_DEP_1)
	v_cmp_lt_i32_e32 vcc_lo, 5, v24
	v_cmp_eq_u32_e64 s0, 3, v24
	s_or_b32 vcc_lo, s0, vcc_lo
	s_wait_alu 0xfffe
	v_add_co_ci_u32_e32 v8, vcc_lo, 0, v8, vcc_lo
	v_cmp_ne_u32_e32 vcc_lo, 0, v0
	v_mul_f64_e32 v[4:5], s[28:29], v[4:5]
	v_and_or_b32 v6, 0x1ff, v7, v6
	s_wait_alu 0xfffd
	v_cndmask_b32_e64 v0, 0, 1, vcc_lo
	v_cmp_gt_i32_e32 vcc_lo, 1, v20
	s_delay_alu instid0(VALU_DEP_2)
	v_lshl_or_b32 v0, v0, 9, 0x7c00
	s_wait_alu 0xfffd
	v_cndmask_b32_e32 v17, v18, v17, vcc_lo
	v_cmp_gt_i32_e32 vcc_lo, 31, v12
	v_mul_f16_e32 v18, v21, v22
	s_wait_alu 0xfffd
	s_delay_alu instid0(VALU_DEP_3)
	v_dual_cndmask_b32 v8, 0x7c00, v8 :: v_dual_and_b32 v23, 7, v17
	v_add_co_u32 v2, vcc_lo, v2, s26
	s_wait_alu 0xfffd
	v_add_co_ci_u32_e32 v3, vcc_lo, s27, v3, vcc_lo
	v_fmac_f16_e32 v18, v9, v11
	v_cmp_eq_u32_e32 vcc_lo, 0x40f, v12
	v_lshrrev_b32_e32 v12, 16, v1
	v_cmp_eq_u32_e64 s0, 3, v23
	v_lshrrev_b32_e32 v17, 2, v17
	global_store_b32 v[2:3], v19, off
	s_wait_alu 0xfffd
	v_cndmask_b32_e32 v8, v8, v0, vcc_lo
	v_cvt_f32_f16_e32 v0, v18
	v_cmp_lt_i32_e32 vcc_lo, 5, v23
	v_lshrrev_b32_e32 v18, 8, v7
	v_bfe_u32 v23, v7, 20, 11
	v_lshrrev_b32_e32 v7, 16, v7
	v_cvt_f64_f32_e32 v[0:1], v0
	s_or_b32 vcc_lo, s0, vcc_lo
	v_mad_co_u64_u32 v[2:3], null, 0x140, s20, v[2:3]
	s_wait_alu 0xfffe
	v_add_co_ci_u32_e32 v17, vcc_lo, 0, v17, vcc_lo
	v_cmp_ne_u32_e32 vcc_lo, 0, v6
	v_sub_nc_u32_e32 v25, 0x3f1, v23
	s_wait_alu 0xfffd
	v_cndmask_b32_e64 v6, 0, 1, vcc_lo
	v_cmp_ne_u32_e32 vcc_lo, 0, v14
	s_delay_alu instid0(VALU_DEP_3) | instskip(NEXT) | instid1(VALU_DEP_3)
	v_med3_i32 v25, v25, 0, 13
	v_and_or_b32 v6, 0xffe, v18, v6
	s_wait_alu 0xfffd
	v_cndmask_b32_e64 v14, 0, 1, vcc_lo
	v_cmp_gt_i32_e32 vcc_lo, 31, v20
	s_delay_alu instid0(VALU_DEP_3) | instskip(NEXT) | instid1(VALU_DEP_3)
	v_or_b32_e32 v26, 0x1000, v6
	v_lshl_or_b32 v14, v14, 9, 0x7c00
	s_wait_alu 0xfffd
	v_cndmask_b32_e32 v24, 0x7c00, v17, vcc_lo
	v_cmp_eq_u32_e32 vcc_lo, 0x40f, v20
	v_and_or_b32 v20, 0x1ff, v5, v4
	v_mad_co_u64_u32 v[17:18], null, s20, v32, 0
	v_lshrrev_b32_e32 v19, v25, v26
	s_wait_alu 0xfffd
	v_cndmask_b32_e32 v14, v24, v14, vcc_lo
	v_cmp_ne_u32_e32 vcc_lo, 0, v20
	v_and_or_b32 v24, 0x8000, v12, v8
	v_lshrrev_b32_e32 v20, 8, v5
	v_lshlrev_b32_e32 v8, v25, v19
	v_mov_b32_e32 v4, v18
	s_wait_alu 0xfffd
	v_cndmask_b32_e64 v18, 0, 1, vcc_lo
	v_bfe_u32 v25, v5, 20, 11
	v_and_or_b32 v14, 0x8000, v13, v14
	v_mul_f64_e32 v[0:1], s[28:29], v[0:1]
	v_mad_co_u64_u32 v[12:13], null, s21, v32, v[4:5]
	v_cmp_ne_u32_e32 vcc_lo, v8, v26
	v_and_or_b32 v20, 0xffe, v20, v18
	v_sub_nc_u32_e32 v13, 0x3f1, v25
	v_mul_f16_e32 v18, v9, v22
	ds_load_2addr_b32 v[8:9], v10 offset0:184 offset1:224
	s_wait_alu 0xfffd
	v_cndmask_b32_e64 v4, 0, 1, vcc_lo
	v_add_nc_u32_e32 v22, 0xfffffc10, v23
	v_or_b32_e32 v23, 0x1000, v20
	v_med3_i32 v10, v13, 0, 13
	v_fma_f16 v11, v11, v21, -v18
	v_or_b32_e32 v4, v19, v4
	v_mov_b32_e32 v18, v12
	v_lshl_or_b32 v12, v22, 12, v6
	v_lshrrev_b32_e32 v19, v10, v23
	v_cvt_f32_f16_e32 v11, v11
	v_and_b32_e32 v13, 0xffff, v24
	v_cmp_gt_i32_e32 vcc_lo, 1, v22
	s_delay_alu instid0(VALU_DEP_4) | instskip(NEXT) | instid1(VALU_DEP_4)
	v_lshlrev_b32_e32 v21, v10, v19
	v_cvt_f64_f32_e32 v[10:11], v11
	s_delay_alu instid0(VALU_DEP_4)
	v_lshl_or_b32 v24, v14, 16, v13
	s_wait_alu 0xfffd
	v_cndmask_b32_e32 v4, v12, v4, vcc_lo
	v_lshlrev_b64_e32 v[12:13], 2, v[17:18]
	v_cmp_ne_u32_e32 vcc_lo, v21, v23
	s_wait_dscnt 0x0
	v_lshrrev_b32_e32 v21, 16, v8
	s_wait_loadcnt 0x1
	v_lshrrev_b32_e32 v23, 16, v29
	v_and_b32_e32 v14, 7, v4
	v_add_nc_u32_e32 v18, 0xfffffc10, v25
	s_wait_alu 0xfffd
	v_cndmask_b32_e64 v17, 0, 1, vcc_lo
	v_add_co_u32 v12, vcc_lo, v15, v12
	v_mul_f16_e32 v15, v21, v23
	s_wait_alu 0xfffd
	v_add_co_ci_u32_e32 v13, vcc_lo, v16, v13, vcc_lo
	v_cmp_lt_i32_e32 vcc_lo, 5, v14
	v_cmp_eq_u32_e64 s0, 3, v14
	v_fmac_f16_e32 v15, v8, v29
	v_lshrrev_b32_e32 v4, 2, v4
	v_or_b32_e32 v16, v19, v17
	v_lshl_or_b32 v17, v18, 12, v20
	v_cmp_gt_i32_e64 s1, 1, v18
	v_and_or_b32 v0, 0x1ff, v1, v0
	v_cvt_f32_f16_e32 v14, v15
	s_or_b32 vcc_lo, s0, vcc_lo
	v_lshrrev_b32_e32 v19, 8, v1
	s_wait_alu 0xfffe
	v_add_co_ci_u32_e32 v4, vcc_lo, 0, v4, vcc_lo
	v_cndmask_b32_e64 v16, v17, v16, s1
	v_cvt_f64_f32_e32 v[14:15], v14
	v_cmp_ne_u32_e32 vcc_lo, 0, v0
	v_bfe_u32 v25, v1, 20, 11
	v_cmp_ne_u32_e64 s1, 0, v6
	v_and_b32_e32 v17, 7, v16
	v_lshrrev_b32_e32 v16, 2, v16
	s_wait_alu 0xfffd
	v_cndmask_b32_e64 v0, 0, 1, vcc_lo
	v_cmp_gt_i32_e32 vcc_lo, 31, v22
	s_wait_alu 0xf1ff
	v_cndmask_b32_e64 v6, 0, 1, s1
	v_cmp_eq_u32_e64 s0, 3, v17
	v_mul_f64_e32 v[10:11], s[28:29], v[10:11]
	v_mul_f16_e32 v8, v8, v23
	s_wait_alu 0xfffd
	v_cndmask_b32_e32 v4, 0x7c00, v4, vcc_lo
	v_cmp_lt_i32_e32 vcc_lo, 5, v17
	v_and_or_b32 v17, 0xffe, v19, v0
	v_sub_nc_u32_e32 v0, 0x3f1, v25
	v_lshl_or_b32 v6, v6, 9, 0x7c00
	s_wait_loadcnt 0x0
	v_lshrrev_b32_e32 v23, 16, v30
	s_or_b32 vcc_lo, s0, vcc_lo
	v_or_b32_e32 v19, 0x1000, v17
	s_wait_alu 0xfffe
	v_add_co_ci_u32_e32 v16, vcc_lo, 0, v16, vcc_lo
	v_cmp_ne_u32_e32 vcc_lo, 0, v20
	v_med3_i32 v0, v0, 0, 13
	s_wait_alu 0xfffd
	v_cndmask_b32_e64 v20, 0, 1, vcc_lo
	v_cmp_gt_i32_e32 vcc_lo, 31, v18
	s_delay_alu instid0(VALU_DEP_3) | instskip(NEXT) | instid1(VALU_DEP_3)
	v_lshrrev_b32_e32 v26, v0, v19
	v_lshl_or_b32 v20, v20, 9, 0x7c00
	s_wait_alu 0xfffd
	v_cndmask_b32_e32 v16, 0x7c00, v16, vcc_lo
	v_cmp_eq_u32_e32 vcc_lo, 0x40f, v22
	v_lshlrev_b32_e32 v0, v0, v26
	v_lshrrev_b32_e32 v22, 16, v9
	s_wait_alu 0xfffd
	v_cndmask_b32_e32 v6, v4, v6, vcc_lo
	v_cmp_eq_u32_e32 vcc_lo, 0x40f, v18
	v_lshrrev_b32_e32 v18, 16, v5
	v_mul_f64_e32 v[4:5], s[28:29], v[14:15]
	s_delay_alu instid0(VALU_DEP_4)
	v_and_or_b32 v6, 0x8000, v7, v6
	s_wait_alu 0xfffd
	v_cndmask_b32_e32 v16, v16, v20, vcc_lo
	v_cmp_ne_u32_e32 vcc_lo, v0, v19
	v_add_nc_u32_e32 v19, 0xfffffc10, v25
	v_fma_f16 v7, v29, v21, -v8
	v_and_or_b32 v10, 0x1ff, v11, v10
	v_and_or_b32 v18, 0x8000, v18, v16
	s_wait_alu 0xfffd
	v_cndmask_b32_e64 v0, 0, 1, vcc_lo
	v_lshl_or_b32 v14, v19, 12, v17
	v_cmp_gt_i32_e32 vcc_lo, 1, v19
	v_and_b32_e32 v20, 0xffff, v6
	v_lshrrev_b32_e32 v21, 8, v11
	v_or_b32_e32 v0, v26, v0
	s_delay_alu instid0(VALU_DEP_3) | instskip(SKIP_1) | instid1(VALU_DEP_2)
	v_lshl_or_b32 v18, v18, 16, v20
	s_wait_alu 0xfffd
	v_cndmask_b32_e32 v8, v14, v0, vcc_lo
	v_mov_b32_e32 v0, v3
	v_cvt_f32_f16_e32 v3, v7
	v_cmp_ne_u32_e32 vcc_lo, 0, v10
	s_delay_alu instid0(VALU_DEP_4) | instskip(NEXT) | instid1(VALU_DEP_4)
	v_and_b32_e32 v16, 7, v8
	v_mad_co_u64_u32 v[14:15], null, 0x140, s21, v[0:1]
	s_delay_alu instid0(VALU_DEP_4)
	v_cvt_f64_f32_e32 v[6:7], v3
	s_wait_alu 0xfffd
	v_cndmask_b32_e64 v10, 0, 1, vcc_lo
	v_bfe_u32 v3, v11, 20, 11
	v_cmp_lt_i32_e32 vcc_lo, 5, v16
	v_cmp_eq_u32_e64 s0, 3, v16
	v_mul_f16_e32 v15, v22, v23
	v_lshrrev_b32_e32 v8, 2, v8
	v_and_or_b32 v10, 0xffe, v21, v10
	v_sub_nc_u32_e32 v0, 0x3f1, v3
	s_or_b32 vcc_lo, s0, vcc_lo
	v_fmac_f16_e32 v15, v9, v30
	s_wait_alu 0xfffe
	v_add_co_ci_u32_e32 v8, vcc_lo, 0, v8, vcc_lo
	v_or_b32_e32 v21, 0x1000, v10
	v_med3_i32 v0, v0, 0, 13
	v_cmp_ne_u32_e32 vcc_lo, 0, v17
	v_cvt_f32_f16_e32 v15, v15
	v_and_or_b32 v4, 0x1ff, v5, v4
	v_lshrrev_b32_e32 v1, 16, v1
	v_lshrrev_b32_e32 v25, v0, v21
	s_wait_alu 0xfffd
	v_cndmask_b32_e64 v17, 0, 1, vcc_lo
	v_cmp_gt_i32_e32 vcc_lo, 31, v19
	v_cvt_f64_f32_e32 v[15:16], v15
	v_lshrrev_b32_e32 v11, 16, v11
	v_lshlrev_b32_e32 v0, v0, v25
	v_lshl_or_b32 v17, v17, 9, 0x7c00
	s_wait_alu 0xfffd
	v_cndmask_b32_e32 v26, 0x7c00, v8, vcc_lo
	v_cmp_ne_u32_e32 vcc_lo, 0, v4
	v_mul_f16_e32 v8, v9, v23
	v_lshrrev_b32_e32 v9, 8, v5
	s_wait_alu 0xfffd
	v_cndmask_b32_e64 v4, 0, 1, vcc_lo
	v_cmp_ne_u32_e32 vcc_lo, v0, v21
	v_fma_f16 v8, v30, v22, -v8
	v_add_nc_u32_e32 v22, 0xfffffc10, v3
	v_bfe_u32 v21, v5, 20, 11
	v_and_or_b32 v4, 0xffe, v9, v4
	s_wait_alu 0xfffd
	v_cndmask_b32_e64 v0, 0, 1, vcc_lo
	v_mul_f64_e32 v[6:7], s[28:29], v[6:7]
	v_lshl_or_b32 v23, v22, 12, v10
	v_cmp_gt_i32_e32 vcc_lo, 1, v22
	v_sub_nc_u32_e32 v3, 0x3f1, v21
	v_or_b32_e32 v0, v25, v0
	v_cvt_f32_f16_e32 v8, v8
	v_or_b32_e32 v25, 0x1000, v4
	v_add_nc_u32_e32 v21, 0xfffffc10, v21
	v_med3_i32 v27, v3, 0, 13
	s_wait_alu 0xfffd
	v_cndmask_b32_e32 v0, v23, v0, vcc_lo
	v_cmp_eq_u32_e32 vcc_lo, 0x40f, v19
	v_cvt_f64_f32_e32 v[8:9], v8
	v_mov_b32_e32 v3, v14
	v_lshrrev_b32_e32 v19, v27, v25
	v_and_b32_e32 v23, 7, v0
	s_wait_alu 0xfffd
	v_cndmask_b32_e32 v17, v26, v17, vcc_lo
	v_lshrrev_b32_e32 v20, 2, v0
	v_lshrrev_b32_e32 v5, 16, v5
	v_lshlrev_b32_e32 v14, v27, v19
	v_cmp_lt_i32_e32 vcc_lo, 5, v23
	v_cmp_eq_u32_e64 s0, 3, v23
	v_and_or_b32 v17, 0x8000, v1, v17
	v_mul_f64_e32 v[0:1], s[28:29], v[15:16]
	v_cmp_ne_u32_e64 s1, v14, v25
	v_lshl_or_b32 v16, v21, 12, v4
	s_or_b32 vcc_lo, s0, vcc_lo
	s_wait_alu 0xfffe
	v_add_co_ci_u32_e32 v15, vcc_lo, 0, v20, vcc_lo
	v_cmp_ne_u32_e32 vcc_lo, 0, v10
	v_cndmask_b32_e64 v14, 0, 1, s1
	s_wait_alu 0xfffd
	v_cndmask_b32_e64 v10, 0, 1, vcc_lo
	v_cmp_gt_i32_e32 vcc_lo, 31, v22
	s_delay_alu instid0(VALU_DEP_3) | instskip(SKIP_1) | instid1(VALU_DEP_4)
	v_or_b32_e32 v14, v19, v14
	v_and_or_b32 v6, 0x1ff, v7, v6
	v_lshl_or_b32 v10, v10, 9, 0x7c00
	s_wait_alu 0xfffd
	v_cndmask_b32_e32 v15, 0x7c00, v15, vcc_lo
	v_cmp_gt_i32_e32 vcc_lo, 1, v21
	v_bfe_u32 v19, v7, 20, 11
	s_wait_alu 0xfffd
	v_cndmask_b32_e32 v14, v16, v14, vcc_lo
	v_cmp_eq_u32_e32 vcc_lo, 0x40f, v22
	v_lshrrev_b32_e32 v16, 8, v7
	v_mul_f64_e32 v[8:9], s[28:29], v[8:9]
	v_lshrrev_b32_e32 v7, 16, v7
	s_wait_alu 0xfffd
	v_cndmask_b32_e32 v10, v15, v10, vcc_lo
	v_cmp_ne_u32_e32 vcc_lo, 0, v6
	v_and_b32_e32 v15, 7, v14
	s_delay_alu instid0(VALU_DEP_3)
	v_and_or_b32 v10, 0x8000, v11, v10
	v_and_b32_e32 v11, 0xffff, v17
	s_wait_alu 0xfffd
	v_cndmask_b32_e64 v6, 0, 1, vcc_lo
	v_cmp_lt_i32_e32 vcc_lo, 5, v15
	v_cmp_eq_u32_e64 s0, 3, v15
	v_and_or_b32 v0, 0x1ff, v1, v0
	v_lshl_or_b32 v10, v10, 16, v11
	v_lshrrev_b32_e32 v11, 2, v14
	v_and_or_b32 v6, 0xffe, v16, v6
	v_sub_nc_u32_e32 v16, 0x3f1, v19
	s_or_b32 vcc_lo, s0, vcc_lo
	v_lshrrev_b32_e32 v17, 8, v1
	s_wait_alu 0xfffe
	v_add_co_ci_u32_e32 v11, vcc_lo, 0, v11, vcc_lo
	v_or_b32_e32 v14, 0x1000, v6
	v_med3_i32 v15, v16, 0, 13
	v_cmp_ne_u32_e32 vcc_lo, 0, v4
	v_bfe_u32 v20, v1, 20, 11
	v_lshrrev_b32_e32 v1, 16, v1
	s_delay_alu instid0(VALU_DEP_4) | instskip(SKIP_3) | instid1(VALU_DEP_3)
	v_lshrrev_b32_e32 v16, v15, v14
	s_wait_alu 0xfffd
	v_cndmask_b32_e64 v4, 0, 1, vcc_lo
	v_cmp_gt_i32_e32 vcc_lo, 31, v21
	v_lshlrev_b32_e32 v15, v15, v16
	s_delay_alu instid0(VALU_DEP_3)
	v_lshl_or_b32 v4, v4, 9, 0x7c00
	s_wait_alu 0xfffd
	v_cndmask_b32_e32 v11, 0x7c00, v11, vcc_lo
	v_cmp_ne_u32_e32 vcc_lo, 0, v0
	v_and_or_b32 v8, 0x1ff, v9, v8
	s_wait_alu 0xfffd
	v_cndmask_b32_e64 v0, 0, 1, vcc_lo
	v_cmp_ne_u32_e32 vcc_lo, v15, v14
	v_add_nc_u32_e32 v15, 0xfffffc10, v19
	v_lshrrev_b32_e32 v19, 8, v9
	s_delay_alu instid0(VALU_DEP_4)
	v_and_or_b32 v0, 0xffe, v17, v0
	s_wait_alu 0xfffd
	v_cndmask_b32_e64 v14, 0, 1, vcc_lo
	v_sub_nc_u32_e32 v17, 0x3f1, v20
	v_cmp_eq_u32_e32 vcc_lo, 0x40f, v21
	v_bfe_u32 v21, v9, 20, 11
	s_delay_alu instid0(VALU_DEP_3)
	v_med3_i32 v17, v17, 0, 13
	s_wait_alu 0xfffd
	v_cndmask_b32_e32 v4, v11, v4, vcc_lo
	v_or_b32_e32 v11, v16, v14
	v_lshl_or_b32 v14, v15, 12, v6
	v_or_b32_e32 v16, 0x1000, v0
	v_cmp_gt_i32_e32 vcc_lo, 1, v15
	v_and_or_b32 v4, 0x8000, v5, v4
	s_wait_alu 0xfffd
	v_cndmask_b32_e32 v11, v14, v11, vcc_lo
	v_lshrrev_b32_e32 v14, v17, v16
	v_cmp_ne_u32_e32 vcc_lo, 0, v8
	v_and_b32_e32 v4, 0xffff, v4
	s_delay_alu instid0(VALU_DEP_4) | instskip(NEXT) | instid1(VALU_DEP_4)
	v_and_b32_e32 v22, 7, v11
	v_lshlrev_b32_e32 v17, v17, v14
	s_wait_alu 0xfffd
	v_cndmask_b32_e64 v8, 0, 1, vcc_lo
	v_lshrrev_b32_e32 v11, 2, v11
	v_cmp_lt_i32_e32 vcc_lo, 5, v22
	v_cmp_ne_u32_e64 s0, v17, v16
	s_delay_alu instid0(VALU_DEP_4)
	v_and_or_b32 v5, 0xffe, v19, v8
	v_sub_nc_u32_e32 v8, 0x3f1, v21
	v_add_nc_u32_e32 v19, 0xfffffc10, v20
	s_wait_alu 0xf1ff
	v_cndmask_b32_e64 v16, 0, 1, s0
	v_cmp_eq_u32_e64 s0, 3, v22
	v_or_b32_e32 v17, 0x1000, v5
	v_med3_i32 v8, v8, 0, 13
	v_lshl_or_b32 v20, v19, 12, v0
	v_or_b32_e32 v14, v14, v16
	s_or_b32 vcc_lo, s0, vcc_lo
	s_wait_alu 0xfffe
	v_add_co_ci_u32_e32 v11, vcc_lo, 0, v11, vcc_lo
	v_lshrrev_b32_e32 v16, v8, v17
	v_cmp_gt_i32_e32 vcc_lo, 1, v19
	s_delay_alu instid0(VALU_DEP_2) | instskip(SKIP_3) | instid1(VALU_DEP_2)
	v_lshlrev_b32_e32 v8, v8, v16
	s_wait_alu 0xfffd
	v_cndmask_b32_e32 v14, v20, v14, vcc_lo
	v_cmp_ne_u32_e32 vcc_lo, 0, v6
	v_and_b32_e32 v20, 7, v14
	s_wait_alu 0xfffd
	v_cndmask_b32_e64 v6, 0, 1, vcc_lo
	v_cmp_ne_u32_e32 vcc_lo, v8, v17
	v_add_nc_u32_e32 v17, 0xfffffc10, v21
	v_cmp_eq_u32_e64 s0, 3, v20
	s_delay_alu instid0(VALU_DEP_4) | instskip(SKIP_4) | instid1(VALU_DEP_3)
	v_lshl_or_b32 v6, v6, 9, 0x7c00
	s_wait_alu 0xfffd
	v_cndmask_b32_e64 v8, 0, 1, vcc_lo
	v_cmp_gt_i32_e32 vcc_lo, 31, v15
	v_cmp_gt_i32_e64 s1, 1, v17
	v_or_b32_e32 v8, v16, v8
	v_lshl_or_b32 v16, v17, 12, v5
	s_wait_alu 0xfffd
	v_cndmask_b32_e32 v11, 0x7c00, v11, vcc_lo
	v_cmp_lt_i32_e32 vcc_lo, 5, v20
	s_wait_alu 0xf1ff
	v_cndmask_b32_e64 v8, v16, v8, s1
	v_cmp_eq_u32_e64 s1, 0x40f, v15
	s_or_b32 vcc_lo, s0, vcc_lo
	s_delay_alu instid0(VALU_DEP_1)
	v_cndmask_b32_e64 v6, v11, v6, s1
	v_lshrrev_b32_e32 v11, 2, v14
	v_and_b32_e32 v14, 7, v8
	v_lshrrev_b32_e32 v8, 2, v8
	v_cmp_gt_i32_e64 s1, 31, v19
	v_and_or_b32 v6, 0x8000, v7, v6
	s_wait_alu 0xfffe
	v_add_co_ci_u32_e32 v11, vcc_lo, 0, v11, vcc_lo
	v_cmp_ne_u32_e32 vcc_lo, 0, v0
	v_cmp_eq_u32_e64 s0, 3, v14
	s_wait_alu 0xf1ff
	s_delay_alu instid0(VALU_DEP_3) | instskip(SKIP_3) | instid1(VALU_DEP_2)
	v_cndmask_b32_e64 v11, 0x7c00, v11, s1
	s_wait_alu 0xfffd
	v_cndmask_b32_e64 v0, 0, 1, vcc_lo
	v_cmp_lt_i32_e32 vcc_lo, 5, v14
	v_lshl_or_b32 v0, v0, 9, 0x7c00
	s_or_b32 vcc_lo, s0, vcc_lo
	s_wait_alu 0xfffe
	v_add_co_ci_u32_e32 v8, vcc_lo, 0, v8, vcc_lo
	v_cmp_ne_u32_e32 vcc_lo, 0, v5
	s_wait_alu 0xfffd
	v_cndmask_b32_e64 v5, 0, 1, vcc_lo
	v_cmp_eq_u32_e32 vcc_lo, 0x40f, v19
	s_delay_alu instid0(VALU_DEP_2) | instskip(SKIP_3) | instid1(VALU_DEP_2)
	v_lshl_or_b32 v5, v5, 9, 0x7c00
	s_wait_alu 0xfffd
	v_cndmask_b32_e32 v0, v11, v0, vcc_lo
	v_cmp_gt_i32_e32 vcc_lo, 31, v17
	v_and_or_b32 v7, 0x8000, v1, v0
	s_wait_alu 0xfffd
	v_cndmask_b32_e32 v8, 0x7c00, v8, vcc_lo
	v_cmp_eq_u32_e32 vcc_lo, 0x40f, v17
	s_delay_alu instid0(VALU_DEP_3) | instskip(SKIP_1) | instid1(VALU_DEP_3)
	v_and_b32_e32 v7, 0xffff, v7
	s_wait_alu 0xfffd
	v_cndmask_b32_e32 v5, v8, v5, vcc_lo
	v_lshrrev_b32_e32 v8, 16, v9
	v_add_co_u32 v0, vcc_lo, v2, s26
	s_wait_alu 0xfffd
	v_add_co_ci_u32_e32 v1, vcc_lo, s27, v3, vcc_lo
	v_lshl_or_b32 v9, v6, 16, v4
	v_and_or_b32 v6, 0x8000, v8, v5
	v_add_co_u32 v4, vcc_lo, v0, s26
	s_wait_alu 0xfffd
	v_add_co_ci_u32_e32 v5, vcc_lo, s27, v1, vcc_lo
	s_delay_alu instid0(VALU_DEP_3) | instskip(NEXT) | instid1(VALU_DEP_3)
	v_lshl_or_b32 v8, v6, 16, v7
	v_add_co_u32 v6, vcc_lo, v4, s26
	s_wait_alu 0xfffd
	s_delay_alu instid0(VALU_DEP_3)
	v_add_co_ci_u32_e32 v7, vcc_lo, s27, v5, vcc_lo
	global_store_b32 v[12:13], v24, off
	global_store_b32 v[2:3], v18, off
	;; [unrolled: 1-line block ×5, first 2 shown]
.LBB0_23:
	s_nop 0
	s_sendmsg sendmsg(MSG_DEALLOC_VGPRS)
	s_endpgm
	.section	.rodata,"a",@progbits
	.p2align	6, 0x0
	.amdhsa_kernel bluestein_single_fwd_len520_dim1_half_op_CI_CI
		.amdhsa_group_segment_fixed_size 2080
		.amdhsa_private_segment_fixed_size 0
		.amdhsa_kernarg_size 104
		.amdhsa_user_sgpr_count 2
		.amdhsa_user_sgpr_dispatch_ptr 0
		.amdhsa_user_sgpr_queue_ptr 0
		.amdhsa_user_sgpr_kernarg_segment_ptr 1
		.amdhsa_user_sgpr_dispatch_id 0
		.amdhsa_user_sgpr_private_segment_size 0
		.amdhsa_wavefront_size32 1
		.amdhsa_uses_dynamic_stack 0
		.amdhsa_enable_private_segment 0
		.amdhsa_system_sgpr_workgroup_id_x 1
		.amdhsa_system_sgpr_workgroup_id_y 0
		.amdhsa_system_sgpr_workgroup_id_z 0
		.amdhsa_system_sgpr_workgroup_info 0
		.amdhsa_system_vgpr_workitem_id 0
		.amdhsa_next_free_vgpr 181
		.amdhsa_next_free_sgpr 30
		.amdhsa_reserve_vcc 1
		.amdhsa_float_round_mode_32 0
		.amdhsa_float_round_mode_16_64 0
		.amdhsa_float_denorm_mode_32 3
		.amdhsa_float_denorm_mode_16_64 3
		.amdhsa_fp16_overflow 0
		.amdhsa_workgroup_processor_mode 1
		.amdhsa_memory_ordered 1
		.amdhsa_forward_progress 0
		.amdhsa_round_robin_scheduling 0
		.amdhsa_exception_fp_ieee_invalid_op 0
		.amdhsa_exception_fp_denorm_src 0
		.amdhsa_exception_fp_ieee_div_zero 0
		.amdhsa_exception_fp_ieee_overflow 0
		.amdhsa_exception_fp_ieee_underflow 0
		.amdhsa_exception_fp_ieee_inexact 0
		.amdhsa_exception_int_div_zero 0
	.end_amdhsa_kernel
	.text
.Lfunc_end0:
	.size	bluestein_single_fwd_len520_dim1_half_op_CI_CI, .Lfunc_end0-bluestein_single_fwd_len520_dim1_half_op_CI_CI
                                        ; -- End function
	.section	.AMDGPU.csdata,"",@progbits
; Kernel info:
; codeLenInByte = 22484
; NumSgprs: 32
; NumVgprs: 181
; ScratchSize: 0
; MemoryBound: 0
; FloatMode: 240
; IeeeMode: 1
; LDSByteSize: 2080 bytes/workgroup (compile time only)
; SGPRBlocks: 3
; VGPRBlocks: 22
; NumSGPRsForWavesPerEU: 32
; NumVGPRsForWavesPerEU: 181
; Occupancy: 8
; WaveLimiterHint : 1
; COMPUTE_PGM_RSRC2:SCRATCH_EN: 0
; COMPUTE_PGM_RSRC2:USER_SGPR: 2
; COMPUTE_PGM_RSRC2:TRAP_HANDLER: 0
; COMPUTE_PGM_RSRC2:TGID_X_EN: 1
; COMPUTE_PGM_RSRC2:TGID_Y_EN: 0
; COMPUTE_PGM_RSRC2:TGID_Z_EN: 0
; COMPUTE_PGM_RSRC2:TIDIG_COMP_CNT: 0
	.text
	.p2alignl 7, 3214868480
	.fill 96, 4, 3214868480
	.type	__hip_cuid_1c5fb1b3d7a3c68b,@object ; @__hip_cuid_1c5fb1b3d7a3c68b
	.section	.bss,"aw",@nobits
	.globl	__hip_cuid_1c5fb1b3d7a3c68b
__hip_cuid_1c5fb1b3d7a3c68b:
	.byte	0                               ; 0x0
	.size	__hip_cuid_1c5fb1b3d7a3c68b, 1

	.ident	"AMD clang version 19.0.0git (https://github.com/RadeonOpenCompute/llvm-project roc-6.4.0 25133 c7fe45cf4b819c5991fe208aaa96edf142730f1d)"
	.section	".note.GNU-stack","",@progbits
	.addrsig
	.addrsig_sym __hip_cuid_1c5fb1b3d7a3c68b
	.amdgpu_metadata
---
amdhsa.kernels:
  - .args:
      - .actual_access:  read_only
        .address_space:  global
        .offset:         0
        .size:           8
        .value_kind:     global_buffer
      - .actual_access:  read_only
        .address_space:  global
        .offset:         8
        .size:           8
        .value_kind:     global_buffer
      - .actual_access:  read_only
        .address_space:  global
        .offset:         16
        .size:           8
        .value_kind:     global_buffer
      - .actual_access:  read_only
        .address_space:  global
        .offset:         24
        .size:           8
        .value_kind:     global_buffer
      - .actual_access:  read_only
        .address_space:  global
        .offset:         32
        .size:           8
        .value_kind:     global_buffer
      - .offset:         40
        .size:           8
        .value_kind:     by_value
      - .address_space:  global
        .offset:         48
        .size:           8
        .value_kind:     global_buffer
      - .address_space:  global
        .offset:         56
        .size:           8
        .value_kind:     global_buffer
      - .address_space:  global
        .offset:         64
        .size:           8
        .value_kind:     global_buffer
      - .address_space:  global
        .offset:         72
        .size:           8
        .value_kind:     global_buffer
      - .offset:         80
        .size:           4
        .value_kind:     by_value
      - .address_space:  global
        .offset:         88
        .size:           8
        .value_kind:     global_buffer
      - .address_space:  global
        .offset:         96
        .size:           8
        .value_kind:     global_buffer
    .group_segment_fixed_size: 2080
    .kernarg_segment_align: 8
    .kernarg_segment_size: 104
    .language:       OpenCL C
    .language_version:
      - 2
      - 0
    .max_flat_workgroup_size: 52
    .name:           bluestein_single_fwd_len520_dim1_half_op_CI_CI
    .private_segment_fixed_size: 0
    .sgpr_count:     32
    .sgpr_spill_count: 0
    .symbol:         bluestein_single_fwd_len520_dim1_half_op_CI_CI.kd
    .uniform_work_group_size: 1
    .uses_dynamic_stack: false
    .vgpr_count:     181
    .vgpr_spill_count: 0
    .wavefront_size: 32
    .workgroup_processor_mode: 1
amdhsa.target:   amdgcn-amd-amdhsa--gfx1201
amdhsa.version:
  - 1
  - 2
...

	.end_amdgpu_metadata
